;; amdgpu-corpus repo=ROCm/rocSPARSE kind=compiled arch=gfx1030 opt=O3
	.amdgcn_target "amdgcn-amd-amdhsa--gfx1030"
	.amdhsa_code_object_version 6
	.section	.text._ZN9rocsparseL19csxsldu_fill_kernelILj1024EL20rocsparse_diag_type_1ELS1_0EiiiEEvT4_PKT3_PKS2_PKT2_21rocsparse_index_base_S5_PS2_PS8_SB_S5_SC_SD_SB_SD_,"axG",@progbits,_ZN9rocsparseL19csxsldu_fill_kernelILj1024EL20rocsparse_diag_type_1ELS1_0EiiiEEvT4_PKT3_PKS2_PKT2_21rocsparse_index_base_S5_PS2_PS8_SB_S5_SC_SD_SB_SD_,comdat
	.globl	_ZN9rocsparseL19csxsldu_fill_kernelILj1024EL20rocsparse_diag_type_1ELS1_0EiiiEEvT4_PKT3_PKS2_PKT2_21rocsparse_index_base_S5_PS2_PS8_SB_S5_SC_SD_SB_SD_ ; -- Begin function _ZN9rocsparseL19csxsldu_fill_kernelILj1024EL20rocsparse_diag_type_1ELS1_0EiiiEEvT4_PKT3_PKS2_PKT2_21rocsparse_index_base_S5_PS2_PS8_SB_S5_SC_SD_SB_SD_
	.p2align	8
	.type	_ZN9rocsparseL19csxsldu_fill_kernelILj1024EL20rocsparse_diag_type_1ELS1_0EiiiEEvT4_PKT3_PKS2_PKT2_21rocsparse_index_base_S5_PS2_PS8_SB_S5_SC_SD_SB_SD_,@function
_ZN9rocsparseL19csxsldu_fill_kernelILj1024EL20rocsparse_diag_type_1ELS1_0EiiiEEvT4_PKT3_PKS2_PKT2_21rocsparse_index_base_S5_PS2_PS8_SB_S5_SC_SD_SB_SD_: ; @_ZN9rocsparseL19csxsldu_fill_kernelILj1024EL20rocsparse_diag_type_1ELS1_0EiiiEEvT4_PKT3_PKS2_PKT2_21rocsparse_index_base_S5_PS2_PS8_SB_S5_SC_SD_SB_SD_
; %bb.0:
	s_clause 0x1
	s_load_dword s0, s[4:5], 0x7c
	s_load_dword s1, s[4:5], 0x0
	s_waitcnt lgkmcnt(0)
	s_and_b32 s0, s0, 0xffff
	v_mad_u64_u32 v[2:3], null, s6, s0, v[0:1]
	s_mov_b32 s0, exec_lo
	v_cmpx_gt_i32_e64 s1, v2
	s_cbranch_execz .LBB0_10
; %bb.1:
	s_clause 0x1
	s_load_dwordx4 s[8:11], s[4:5], 0x8
	s_load_dwordx4 s[0:3], s[4:5], 0x48
	v_ashrrev_i32_e32 v3, 31, v2
	s_load_dwordx2 s[16:17], s[4:5], 0x18
	s_mov_b32 s18, exec_lo
	v_lshlrev_b64 v[3:4], 2, v[2:3]
	s_waitcnt lgkmcnt(0)
	v_add_co_u32 v0, vcc_lo, s8, v3
	v_add_co_ci_u32_e64 v1, null, s9, v4, vcc_lo
	global_load_dwordx2 v[5:6], v[0:1], off
	v_add_co_u32 v0, vcc_lo, s0, v3
	v_add_co_ci_u32_e64 v1, null, s1, v4, vcc_lo
	global_load_dword v10, v[0:1], off
	s_clause 0x1
	s_load_dword s1, s[4:5], 0x20
	s_load_dwordx2 s[6:7], s[4:5], 0x58
	s_waitcnt vmcnt(1) lgkmcnt(0)
	v_subrev_nc_u32_e32 v0, s1, v5
	v_subrev_nc_u32_e32 v9, s1, v6
	v_cmpx_lt_i32_e64 v5, v6
	s_cbranch_execz .LBB0_7
; %bb.2:
	s_clause 0x1
	s_load_dwordx4 s[12:15], s[4:5], 0x28
	s_load_dwordx2 s[8:9], s[4:5], 0x38
	v_ashrrev_i32_e32 v1, 31, v0
                                        ; implicit-def: $sgpr19
	v_lshlrev_b64 v[5:6], 2, v[0:1]
	s_waitcnt lgkmcnt(0)
	v_add_co_u32 v3, vcc_lo, s12, v3
	v_add_co_ci_u32_e64 v4, null, s13, v4, vcc_lo
	s_load_dword s12, s[4:5], 0x40
	s_mov_b32 s13, 0
	global_load_dword v7, v[3:4], off
	v_add_co_u32 v3, vcc_lo, s10, v5
	v_add_co_ci_u32_e64 v4, null, s11, v6, vcc_lo
	v_add_co_u32 v5, vcc_lo, s16, v5
	v_add_co_ci_u32_e64 v6, null, s17, v6, vcc_lo
	s_waitcnt vmcnt(0) lgkmcnt(0)
	v_subrev_nc_u32_e32 v7, s12, v7
	s_inst_prefetch 0x1
	s_branch .LBB0_4
	.p2align	6
.LBB0_3:                                ;   in Loop: Header=BB0_4 Depth=1
	s_or_b32 exec_lo, exec_lo, s20
	s_and_b32 s0, exec_lo, s19
	s_or_b32 s13, s0, s13
	s_andn2_b32 exec_lo, exec_lo, s13
	s_cbranch_execz .LBB0_6
.LBB0_4:                                ; =>This Inner Loop Header: Depth=1
	global_load_dword v1, v[3:4], off
	s_or_b32 s19, s19, exec_lo
	s_mov_b32 s20, exec_lo
	s_waitcnt vmcnt(0)
	v_subrev_nc_u32_e32 v1, s1, v1
	v_cmpx_gt_i32_e64 v2, v1
	s_cbranch_execz .LBB0_3
; %bb.5:                                ;   in Loop: Header=BB0_4 Depth=1
	v_ashrrev_i32_e32 v8, 31, v7
	v_add_nc_u32_e32 v1, s12, v1
	v_add_nc_u32_e32 v0, 1, v0
	v_lshlrev_b64 v[11:12], 2, v[7:8]
	v_add_nc_u32_e32 v7, 1, v7
	v_add_co_u32 v13, vcc_lo, s14, v11
	v_add_co_ci_u32_e64 v14, null, s15, v12, vcc_lo
	v_add_co_u32 v11, vcc_lo, s8, v11
	v_add_co_ci_u32_e64 v12, null, s9, v12, vcc_lo
	global_store_dword v[13:14], v1, off
	global_load_dword v1, v[5:6], off
	v_add_co_u32 v3, vcc_lo, v3, 4
	v_add_co_ci_u32_e64 v4, null, 0, v4, vcc_lo
	v_cmp_ge_i32_e32 vcc_lo, v0, v9
	v_add_co_u32 v5, s0, v5, 4
	v_add_co_ci_u32_e64 v6, null, 0, v6, s0
	s_andn2_b32 s0, s19, exec_lo
	s_and_b32 s19, vcc_lo, exec_lo
	s_or_b32 s19, s0, s19
	s_waitcnt vmcnt(0)
	global_store_dword v[11:12], v1, off
	s_branch .LBB0_3
.LBB0_6:
	s_inst_prefetch 0x2
	s_or_b32 exec_lo, exec_lo, s13
.LBB0_7:
	s_or_b32 exec_lo, exec_lo, s18
	v_cmp_lt_i32_e32 vcc_lo, v0, v9
	s_and_b32 exec_lo, exec_lo, vcc_lo
	s_cbranch_execz .LBB0_10
; %bb.8:
	s_load_dword s0, s[4:5], 0x60
	v_ashrrev_i32_e32 v1, 31, v0
	s_mov_b32 s4, 0
	v_lshlrev_b64 v[3:4], 2, v[0:1]
	v_add_co_u32 v1, vcc_lo, s10, v3
	v_add_co_ci_u32_e64 v2, null, s11, v4, vcc_lo
	v_add_co_u32 v3, vcc_lo, s16, v3
	v_add_co_ci_u32_e64 v4, null, s17, v4, vcc_lo
	s_waitcnt vmcnt(0) lgkmcnt(0)
	v_subrev_nc_u32_e32 v5, s0, v10
	s_sub_i32 s1, s0, s1
	s_inst_prefetch 0x1
	.p2align	6
.LBB0_9:                                ; =>This Inner Loop Header: Depth=1
	global_load_dword v8, v[1:2], off
	v_ashrrev_i32_e32 v6, 31, v5
	v_add_nc_u32_e32 v0, 1, v0
	v_lshlrev_b64 v[6:7], 2, v[5:6]
	v_add_nc_u32_e32 v5, 1, v5
	v_add_co_u32 v10, vcc_lo, s2, v6
	v_add_co_ci_u32_e64 v11, null, s3, v7, vcc_lo
	v_add_co_u32 v1, vcc_lo, v1, 4
	v_add_co_u32 v6, s0, s6, v6
	v_add_co_ci_u32_e64 v2, null, 0, v2, vcc_lo
	v_cmp_ge_i32_e32 vcc_lo, v0, v9
	v_add_co_ci_u32_e64 v7, null, s7, v7, s0
	s_or_b32 s4, vcc_lo, s4
	s_waitcnt vmcnt(0)
	v_add_nc_u32_e32 v8, s1, v8
	global_store_dword v[10:11], v8, off
	global_load_dword v8, v[3:4], off
	v_add_co_u32 v3, s0, v3, 4
	v_add_co_ci_u32_e64 v4, null, 0, v4, s0
	s_waitcnt vmcnt(0)
	global_store_dword v[6:7], v8, off
	s_andn2_b32 exec_lo, exec_lo, s4
	s_cbranch_execnz .LBB0_9
.LBB0_10:
	s_inst_prefetch 0x2
	s_endpgm
	.section	.rodata,"a",@progbits
	.p2align	6, 0x0
	.amdhsa_kernel _ZN9rocsparseL19csxsldu_fill_kernelILj1024EL20rocsparse_diag_type_1ELS1_0EiiiEEvT4_PKT3_PKS2_PKT2_21rocsparse_index_base_S5_PS2_PS8_SB_S5_SC_SD_SB_SD_
		.amdhsa_group_segment_fixed_size 0
		.amdhsa_private_segment_fixed_size 0
		.amdhsa_kernarg_size 368
		.amdhsa_user_sgpr_count 6
		.amdhsa_user_sgpr_private_segment_buffer 1
		.amdhsa_user_sgpr_dispatch_ptr 0
		.amdhsa_user_sgpr_queue_ptr 0
		.amdhsa_user_sgpr_kernarg_segment_ptr 1
		.amdhsa_user_sgpr_dispatch_id 0
		.amdhsa_user_sgpr_flat_scratch_init 0
		.amdhsa_user_sgpr_private_segment_size 0
		.amdhsa_wavefront_size32 1
		.amdhsa_uses_dynamic_stack 0
		.amdhsa_system_sgpr_private_segment_wavefront_offset 0
		.amdhsa_system_sgpr_workgroup_id_x 1
		.amdhsa_system_sgpr_workgroup_id_y 0
		.amdhsa_system_sgpr_workgroup_id_z 0
		.amdhsa_system_sgpr_workgroup_info 0
		.amdhsa_system_vgpr_workitem_id 0
		.amdhsa_next_free_vgpr 15
		.amdhsa_next_free_sgpr 21
		.amdhsa_reserve_vcc 1
		.amdhsa_reserve_flat_scratch 0
		.amdhsa_float_round_mode_32 0
		.amdhsa_float_round_mode_16_64 0
		.amdhsa_float_denorm_mode_32 3
		.amdhsa_float_denorm_mode_16_64 3
		.amdhsa_dx10_clamp 1
		.amdhsa_ieee_mode 1
		.amdhsa_fp16_overflow 0
		.amdhsa_workgroup_processor_mode 1
		.amdhsa_memory_ordered 1
		.amdhsa_forward_progress 1
		.amdhsa_shared_vgpr_count 0
		.amdhsa_exception_fp_ieee_invalid_op 0
		.amdhsa_exception_fp_denorm_src 0
		.amdhsa_exception_fp_ieee_div_zero 0
		.amdhsa_exception_fp_ieee_overflow 0
		.amdhsa_exception_fp_ieee_underflow 0
		.amdhsa_exception_fp_ieee_inexact 0
		.amdhsa_exception_int_div_zero 0
	.end_amdhsa_kernel
	.section	.text._ZN9rocsparseL19csxsldu_fill_kernelILj1024EL20rocsparse_diag_type_1ELS1_0EiiiEEvT4_PKT3_PKS2_PKT2_21rocsparse_index_base_S5_PS2_PS8_SB_S5_SC_SD_SB_SD_,"axG",@progbits,_ZN9rocsparseL19csxsldu_fill_kernelILj1024EL20rocsparse_diag_type_1ELS1_0EiiiEEvT4_PKT3_PKS2_PKT2_21rocsparse_index_base_S5_PS2_PS8_SB_S5_SC_SD_SB_SD_,comdat
.Lfunc_end0:
	.size	_ZN9rocsparseL19csxsldu_fill_kernelILj1024EL20rocsparse_diag_type_1ELS1_0EiiiEEvT4_PKT3_PKS2_PKT2_21rocsparse_index_base_S5_PS2_PS8_SB_S5_SC_SD_SB_SD_, .Lfunc_end0-_ZN9rocsparseL19csxsldu_fill_kernelILj1024EL20rocsparse_diag_type_1ELS1_0EiiiEEvT4_PKT3_PKS2_PKT2_21rocsparse_index_base_S5_PS2_PS8_SB_S5_SC_SD_SB_SD_
                                        ; -- End function
	.set _ZN9rocsparseL19csxsldu_fill_kernelILj1024EL20rocsparse_diag_type_1ELS1_0EiiiEEvT4_PKT3_PKS2_PKT2_21rocsparse_index_base_S5_PS2_PS8_SB_S5_SC_SD_SB_SD_.num_vgpr, 15
	.set _ZN9rocsparseL19csxsldu_fill_kernelILj1024EL20rocsparse_diag_type_1ELS1_0EiiiEEvT4_PKT3_PKS2_PKT2_21rocsparse_index_base_S5_PS2_PS8_SB_S5_SC_SD_SB_SD_.num_agpr, 0
	.set _ZN9rocsparseL19csxsldu_fill_kernelILj1024EL20rocsparse_diag_type_1ELS1_0EiiiEEvT4_PKT3_PKS2_PKT2_21rocsparse_index_base_S5_PS2_PS8_SB_S5_SC_SD_SB_SD_.numbered_sgpr, 21
	.set _ZN9rocsparseL19csxsldu_fill_kernelILj1024EL20rocsparse_diag_type_1ELS1_0EiiiEEvT4_PKT3_PKS2_PKT2_21rocsparse_index_base_S5_PS2_PS8_SB_S5_SC_SD_SB_SD_.num_named_barrier, 0
	.set _ZN9rocsparseL19csxsldu_fill_kernelILj1024EL20rocsparse_diag_type_1ELS1_0EiiiEEvT4_PKT3_PKS2_PKT2_21rocsparse_index_base_S5_PS2_PS8_SB_S5_SC_SD_SB_SD_.private_seg_size, 0
	.set _ZN9rocsparseL19csxsldu_fill_kernelILj1024EL20rocsparse_diag_type_1ELS1_0EiiiEEvT4_PKT3_PKS2_PKT2_21rocsparse_index_base_S5_PS2_PS8_SB_S5_SC_SD_SB_SD_.uses_vcc, 1
	.set _ZN9rocsparseL19csxsldu_fill_kernelILj1024EL20rocsparse_diag_type_1ELS1_0EiiiEEvT4_PKT3_PKS2_PKT2_21rocsparse_index_base_S5_PS2_PS8_SB_S5_SC_SD_SB_SD_.uses_flat_scratch, 0
	.set _ZN9rocsparseL19csxsldu_fill_kernelILj1024EL20rocsparse_diag_type_1ELS1_0EiiiEEvT4_PKT3_PKS2_PKT2_21rocsparse_index_base_S5_PS2_PS8_SB_S5_SC_SD_SB_SD_.has_dyn_sized_stack, 0
	.set _ZN9rocsparseL19csxsldu_fill_kernelILj1024EL20rocsparse_diag_type_1ELS1_0EiiiEEvT4_PKT3_PKS2_PKT2_21rocsparse_index_base_S5_PS2_PS8_SB_S5_SC_SD_SB_SD_.has_recursion, 0
	.set _ZN9rocsparseL19csxsldu_fill_kernelILj1024EL20rocsparse_diag_type_1ELS1_0EiiiEEvT4_PKT3_PKS2_PKT2_21rocsparse_index_base_S5_PS2_PS8_SB_S5_SC_SD_SB_SD_.has_indirect_call, 0
	.section	.AMDGPU.csdata,"",@progbits
; Kernel info:
; codeLenInByte = 792
; TotalNumSgprs: 23
; NumVgprs: 15
; ScratchSize: 0
; MemoryBound: 0
; FloatMode: 240
; IeeeMode: 1
; LDSByteSize: 0 bytes/workgroup (compile time only)
; SGPRBlocks: 0
; VGPRBlocks: 1
; NumSGPRsForWavesPerEU: 23
; NumVGPRsForWavesPerEU: 15
; Occupancy: 16
; WaveLimiterHint : 0
; COMPUTE_PGM_RSRC2:SCRATCH_EN: 0
; COMPUTE_PGM_RSRC2:USER_SGPR: 6
; COMPUTE_PGM_RSRC2:TRAP_HANDLER: 0
; COMPUTE_PGM_RSRC2:TGID_X_EN: 1
; COMPUTE_PGM_RSRC2:TGID_Y_EN: 0
; COMPUTE_PGM_RSRC2:TGID_Z_EN: 0
; COMPUTE_PGM_RSRC2:TIDIG_COMP_CNT: 0
	.section	.text._ZN9rocsparseL19csxsldu_fill_kernelILj1024EL20rocsparse_diag_type_1ELS1_1EiiiEEvT4_PKT3_PKS2_PKT2_21rocsparse_index_base_S5_PS2_PS8_SB_S5_SC_SD_SB_SD_,"axG",@progbits,_ZN9rocsparseL19csxsldu_fill_kernelILj1024EL20rocsparse_diag_type_1ELS1_1EiiiEEvT4_PKT3_PKS2_PKT2_21rocsparse_index_base_S5_PS2_PS8_SB_S5_SC_SD_SB_SD_,comdat
	.globl	_ZN9rocsparseL19csxsldu_fill_kernelILj1024EL20rocsparse_diag_type_1ELS1_1EiiiEEvT4_PKT3_PKS2_PKT2_21rocsparse_index_base_S5_PS2_PS8_SB_S5_SC_SD_SB_SD_ ; -- Begin function _ZN9rocsparseL19csxsldu_fill_kernelILj1024EL20rocsparse_diag_type_1ELS1_1EiiiEEvT4_PKT3_PKS2_PKT2_21rocsparse_index_base_S5_PS2_PS8_SB_S5_SC_SD_SB_SD_
	.p2align	8
	.type	_ZN9rocsparseL19csxsldu_fill_kernelILj1024EL20rocsparse_diag_type_1ELS1_1EiiiEEvT4_PKT3_PKS2_PKT2_21rocsparse_index_base_S5_PS2_PS8_SB_S5_SC_SD_SB_SD_,@function
_ZN9rocsparseL19csxsldu_fill_kernelILj1024EL20rocsparse_diag_type_1ELS1_1EiiiEEvT4_PKT3_PKS2_PKT2_21rocsparse_index_base_S5_PS2_PS8_SB_S5_SC_SD_SB_SD_: ; @_ZN9rocsparseL19csxsldu_fill_kernelILj1024EL20rocsparse_diag_type_1ELS1_1EiiiEEvT4_PKT3_PKS2_PKT2_21rocsparse_index_base_S5_PS2_PS8_SB_S5_SC_SD_SB_SD_
; %bb.0:
	s_clause 0x1
	s_load_dword s0, s[4:5], 0x7c
	s_load_dword s1, s[4:5], 0x0
	s_waitcnt lgkmcnt(0)
	s_and_b32 s0, s0, 0xffff
	v_mad_u64_u32 v[4:5], null, s6, s0, v[0:1]
	s_mov_b32 s0, exec_lo
	v_cmpx_gt_i32_e64 s1, v4
	s_cbranch_execz .LBB1_14
; %bb.1:
	s_clause 0x1
	s_load_dwordx4 s[8:11], s[4:5], 0x8
	s_load_dwordx4 s[0:3], s[4:5], 0x48
	v_ashrrev_i32_e32 v5, 31, v4
	s_load_dwordx2 s[16:17], s[4:5], 0x18
	s_mov_b32 s18, exec_lo
	v_lshlrev_b64 v[2:3], 2, v[4:5]
	s_waitcnt lgkmcnt(0)
	v_add_co_u32 v0, vcc_lo, s8, v2
	v_add_co_ci_u32_e64 v1, null, s9, v3, vcc_lo
	global_load_dwordx2 v[5:6], v[0:1], off
	v_add_co_u32 v0, vcc_lo, s0, v2
	v_add_co_ci_u32_e64 v1, null, s1, v3, vcc_lo
	global_load_dword v14, v[0:1], off
	s_clause 0x1
	s_load_dword s1, s[4:5], 0x20
	s_load_dwordx2 s[6:7], s[4:5], 0x58
	s_waitcnt vmcnt(1) lgkmcnt(0)
	v_subrev_nc_u32_e32 v0, s1, v5
	v_subrev_nc_u32_e32 v13, s1, v6
	v_cmpx_lt_i32_e64 v5, v6
	s_cbranch_execz .LBB1_11
; %bb.2:
	s_clause 0x1
	s_load_dwordx4 s[12:15], s[4:5], 0x28
	s_load_dwordx2 s[8:9], s[4:5], 0x38
	v_ashrrev_i32_e32 v1, 31, v0
	s_mov_b32 s19, 0
                                        ; implicit-def: $sgpr21
                                        ; implicit-def: $sgpr20
	s_waitcnt lgkmcnt(0)
	v_add_co_u32 v5, vcc_lo, s12, v2
	v_add_co_ci_u32_e64 v6, null, s13, v3, vcc_lo
	s_load_dword s12, s[4:5], 0x40
                                        ; implicit-def: $sgpr13
	global_load_dword v11, v[5:6], off
	v_lshlrev_b64 v[5:6], 2, v[0:1]
	v_add_co_u32 v7, vcc_lo, s10, v5
	v_add_co_ci_u32_e64 v8, null, s11, v6, vcc_lo
	v_add_co_u32 v9, vcc_lo, s16, v5
	v_add_co_ci_u32_e64 v10, null, s17, v6, vcc_lo
	s_waitcnt vmcnt(0) lgkmcnt(0)
	v_subrev_nc_u32_e32 v11, s12, v11
	s_branch .LBB1_4
.LBB1_3:                                ;   in Loop: Header=BB1_4 Depth=1
	s_or_b32 exec_lo, exec_lo, s22
	s_and_b32 s0, exec_lo, s21
	s_or_b32 s19, s0, s19
	s_andn2_b32 s0, s13, exec_lo
	s_and_b32 s13, s20, exec_lo
	s_or_b32 s13, s0, s13
	s_andn2_b32 exec_lo, exec_lo, s19
	s_cbranch_execz .LBB1_6
.LBB1_4:                                ; =>This Inner Loop Header: Depth=1
	global_load_dword v5, v[7:8], off
	s_or_b32 s20, s20, exec_lo
	s_or_b32 s21, s21, exec_lo
	s_mov_b32 s22, exec_lo
	s_waitcnt vmcnt(0)
	v_subrev_nc_u32_e32 v15, s1, v5
	v_mov_b32_e32 v6, v1
	v_mov_b32_e32 v5, v0
                                        ; implicit-def: $vgpr0_vgpr1
	v_cmpx_gt_i32_e64 v4, v15
	s_cbranch_execz .LBB1_3
; %bb.5:                                ;   in Loop: Header=BB1_4 Depth=1
	v_ashrrev_i32_e32 v12, 31, v11
	s_andn2_b32 s20, s20, exec_lo
	v_lshlrev_b64 v[0:1], 2, v[11:12]
	v_add_nc_u32_e32 v12, s12, v15
	v_add_nc_u32_e32 v11, 1, v11
	v_add_co_u32 v16, vcc_lo, s14, v0
	v_add_co_ci_u32_e64 v17, null, s15, v1, vcc_lo
	global_store_dword v[16:17], v12, off
	global_load_dword v12, v[9:10], off
	v_add_co_u32 v16, vcc_lo, s8, v0
	v_add_co_ci_u32_e64 v17, null, s9, v1, vcc_lo
	v_add_co_u32 v0, vcc_lo, v5, 1
	v_add_co_ci_u32_e64 v1, null, 0, v6, vcc_lo
	;; [unrolled: 2-line block ×3, first 2 shown]
	v_cmp_ge_i32_e32 vcc_lo, v0, v13
	v_add_co_u32 v9, s0, v9, 4
	v_add_co_ci_u32_e64 v10, null, 0, v10, s0
	s_andn2_b32 s0, s21, exec_lo
	s_and_b32 s21, vcc_lo, exec_lo
	s_or_b32 s21, s0, s21
	s_waitcnt vmcnt(0)
	global_store_dword v[16:17], v12, off
	s_branch .LBB1_3
.LBB1_6:
	s_or_b32 exec_lo, exec_lo, s19
	s_and_saveexec_b32 s0, s13
	s_xor_b32 s0, exec_lo, s0
	s_cbranch_execz .LBB1_10
; %bb.7:
	s_mov_b32 s8, exec_lo
	v_cmpx_eq_u32_e64 v15, v4
	s_cbranch_execz .LBB1_9
; %bb.8:
	v_lshlrev_b64 v[0:1], 2, v[5:6]
	s_load_dwordx2 s[12:13], s[4:5], 0x68
	v_add_nc_u32_e32 v5, 1, v5
	v_add_co_u32 v0, vcc_lo, s16, v0
	v_add_co_ci_u32_e64 v1, null, s17, v1, vcc_lo
	global_load_dword v4, v[0:1], off
	s_waitcnt lgkmcnt(0)
	v_add_co_u32 v0, vcc_lo, s12, v2
	v_add_co_ci_u32_e64 v1, null, s13, v3, vcc_lo
	s_waitcnt vmcnt(0)
	global_store_dword v[0:1], v4, off
.LBB1_9:
	s_or_b32 exec_lo, exec_lo, s8
	v_mov_b32_e32 v0, v5
.LBB1_10:
	s_or_b32 exec_lo, exec_lo, s0
.LBB1_11:
	s_or_b32 exec_lo, exec_lo, s18
	v_cmp_lt_i32_e32 vcc_lo, v0, v13
	s_and_b32 exec_lo, exec_lo, vcc_lo
	s_cbranch_execz .LBB1_14
; %bb.12:
	s_load_dword s0, s[4:5], 0x60
	v_ashrrev_i32_e32 v1, 31, v0
	s_mov_b32 s4, 0
	v_lshlrev_b64 v[3:4], 2, v[0:1]
	v_add_co_u32 v1, vcc_lo, s10, v3
	v_add_co_ci_u32_e64 v2, null, s11, v4, vcc_lo
	v_add_co_u32 v3, vcc_lo, s16, v3
	v_add_co_ci_u32_e64 v4, null, s17, v4, vcc_lo
	s_waitcnt vmcnt(0) lgkmcnt(0)
	v_subrev_nc_u32_e32 v5, s0, v14
	s_sub_i32 s1, s0, s1
	s_inst_prefetch 0x1
	.p2align	6
.LBB1_13:                               ; =>This Inner Loop Header: Depth=1
	global_load_dword v10, v[1:2], off
	v_ashrrev_i32_e32 v6, 31, v5
	v_add_nc_u32_e32 v0, 1, v0
	v_lshlrev_b64 v[6:7], 2, v[5:6]
	v_add_nc_u32_e32 v5, 1, v5
	v_add_co_u32 v8, vcc_lo, s2, v6
	v_add_co_ci_u32_e64 v9, null, s3, v7, vcc_lo
	v_add_co_u32 v1, vcc_lo, v1, 4
	v_add_co_u32 v6, s0, s6, v6
	v_add_co_ci_u32_e64 v2, null, 0, v2, vcc_lo
	v_cmp_ge_i32_e32 vcc_lo, v0, v13
	v_add_co_ci_u32_e64 v7, null, s7, v7, s0
	s_or_b32 s4, vcc_lo, s4
	s_waitcnt vmcnt(0)
	v_add_nc_u32_e32 v10, s1, v10
	global_store_dword v[8:9], v10, off
	global_load_dword v8, v[3:4], off
	v_add_co_u32 v3, s0, v3, 4
	v_add_co_ci_u32_e64 v4, null, 0, v4, s0
	s_waitcnt vmcnt(0)
	global_store_dword v[6:7], v8, off
	s_andn2_b32 exec_lo, exec_lo, s4
	s_cbranch_execnz .LBB1_13
.LBB1_14:
	s_inst_prefetch 0x2
	s_endpgm
	.section	.rodata,"a",@progbits
	.p2align	6, 0x0
	.amdhsa_kernel _ZN9rocsparseL19csxsldu_fill_kernelILj1024EL20rocsparse_diag_type_1ELS1_1EiiiEEvT4_PKT3_PKS2_PKT2_21rocsparse_index_base_S5_PS2_PS8_SB_S5_SC_SD_SB_SD_
		.amdhsa_group_segment_fixed_size 0
		.amdhsa_private_segment_fixed_size 0
		.amdhsa_kernarg_size 368
		.amdhsa_user_sgpr_count 6
		.amdhsa_user_sgpr_private_segment_buffer 1
		.amdhsa_user_sgpr_dispatch_ptr 0
		.amdhsa_user_sgpr_queue_ptr 0
		.amdhsa_user_sgpr_kernarg_segment_ptr 1
		.amdhsa_user_sgpr_dispatch_id 0
		.amdhsa_user_sgpr_flat_scratch_init 0
		.amdhsa_user_sgpr_private_segment_size 0
		.amdhsa_wavefront_size32 1
		.amdhsa_uses_dynamic_stack 0
		.amdhsa_system_sgpr_private_segment_wavefront_offset 0
		.amdhsa_system_sgpr_workgroup_id_x 1
		.amdhsa_system_sgpr_workgroup_id_y 0
		.amdhsa_system_sgpr_workgroup_id_z 0
		.amdhsa_system_sgpr_workgroup_info 0
		.amdhsa_system_vgpr_workitem_id 0
		.amdhsa_next_free_vgpr 18
		.amdhsa_next_free_sgpr 23
		.amdhsa_reserve_vcc 1
		.amdhsa_reserve_flat_scratch 0
		.amdhsa_float_round_mode_32 0
		.amdhsa_float_round_mode_16_64 0
		.amdhsa_float_denorm_mode_32 3
		.amdhsa_float_denorm_mode_16_64 3
		.amdhsa_dx10_clamp 1
		.amdhsa_ieee_mode 1
		.amdhsa_fp16_overflow 0
		.amdhsa_workgroup_processor_mode 1
		.amdhsa_memory_ordered 1
		.amdhsa_forward_progress 1
		.amdhsa_shared_vgpr_count 0
		.amdhsa_exception_fp_ieee_invalid_op 0
		.amdhsa_exception_fp_denorm_src 0
		.amdhsa_exception_fp_ieee_div_zero 0
		.amdhsa_exception_fp_ieee_overflow 0
		.amdhsa_exception_fp_ieee_underflow 0
		.amdhsa_exception_fp_ieee_inexact 0
		.amdhsa_exception_int_div_zero 0
	.end_amdhsa_kernel
	.section	.text._ZN9rocsparseL19csxsldu_fill_kernelILj1024EL20rocsparse_diag_type_1ELS1_1EiiiEEvT4_PKT3_PKS2_PKT2_21rocsparse_index_base_S5_PS2_PS8_SB_S5_SC_SD_SB_SD_,"axG",@progbits,_ZN9rocsparseL19csxsldu_fill_kernelILj1024EL20rocsparse_diag_type_1ELS1_1EiiiEEvT4_PKT3_PKS2_PKT2_21rocsparse_index_base_S5_PS2_PS8_SB_S5_SC_SD_SB_SD_,comdat
.Lfunc_end1:
	.size	_ZN9rocsparseL19csxsldu_fill_kernelILj1024EL20rocsparse_diag_type_1ELS1_1EiiiEEvT4_PKT3_PKS2_PKT2_21rocsparse_index_base_S5_PS2_PS8_SB_S5_SC_SD_SB_SD_, .Lfunc_end1-_ZN9rocsparseL19csxsldu_fill_kernelILj1024EL20rocsparse_diag_type_1ELS1_1EiiiEEvT4_PKT3_PKS2_PKT2_21rocsparse_index_base_S5_PS2_PS8_SB_S5_SC_SD_SB_SD_
                                        ; -- End function
	.set _ZN9rocsparseL19csxsldu_fill_kernelILj1024EL20rocsparse_diag_type_1ELS1_1EiiiEEvT4_PKT3_PKS2_PKT2_21rocsparse_index_base_S5_PS2_PS8_SB_S5_SC_SD_SB_SD_.num_vgpr, 18
	.set _ZN9rocsparseL19csxsldu_fill_kernelILj1024EL20rocsparse_diag_type_1ELS1_1EiiiEEvT4_PKT3_PKS2_PKT2_21rocsparse_index_base_S5_PS2_PS8_SB_S5_SC_SD_SB_SD_.num_agpr, 0
	.set _ZN9rocsparseL19csxsldu_fill_kernelILj1024EL20rocsparse_diag_type_1ELS1_1EiiiEEvT4_PKT3_PKS2_PKT2_21rocsparse_index_base_S5_PS2_PS8_SB_S5_SC_SD_SB_SD_.numbered_sgpr, 23
	.set _ZN9rocsparseL19csxsldu_fill_kernelILj1024EL20rocsparse_diag_type_1ELS1_1EiiiEEvT4_PKT3_PKS2_PKT2_21rocsparse_index_base_S5_PS2_PS8_SB_S5_SC_SD_SB_SD_.num_named_barrier, 0
	.set _ZN9rocsparseL19csxsldu_fill_kernelILj1024EL20rocsparse_diag_type_1ELS1_1EiiiEEvT4_PKT3_PKS2_PKT2_21rocsparse_index_base_S5_PS2_PS8_SB_S5_SC_SD_SB_SD_.private_seg_size, 0
	.set _ZN9rocsparseL19csxsldu_fill_kernelILj1024EL20rocsparse_diag_type_1ELS1_1EiiiEEvT4_PKT3_PKS2_PKT2_21rocsparse_index_base_S5_PS2_PS8_SB_S5_SC_SD_SB_SD_.uses_vcc, 1
	.set _ZN9rocsparseL19csxsldu_fill_kernelILj1024EL20rocsparse_diag_type_1ELS1_1EiiiEEvT4_PKT3_PKS2_PKT2_21rocsparse_index_base_S5_PS2_PS8_SB_S5_SC_SD_SB_SD_.uses_flat_scratch, 0
	.set _ZN9rocsparseL19csxsldu_fill_kernelILj1024EL20rocsparse_diag_type_1ELS1_1EiiiEEvT4_PKT3_PKS2_PKT2_21rocsparse_index_base_S5_PS2_PS8_SB_S5_SC_SD_SB_SD_.has_dyn_sized_stack, 0
	.set _ZN9rocsparseL19csxsldu_fill_kernelILj1024EL20rocsparse_diag_type_1ELS1_1EiiiEEvT4_PKT3_PKS2_PKT2_21rocsparse_index_base_S5_PS2_PS8_SB_S5_SC_SD_SB_SD_.has_recursion, 0
	.set _ZN9rocsparseL19csxsldu_fill_kernelILj1024EL20rocsparse_diag_type_1ELS1_1EiiiEEvT4_PKT3_PKS2_PKT2_21rocsparse_index_base_S5_PS2_PS8_SB_S5_SC_SD_SB_SD_.has_indirect_call, 0
	.section	.AMDGPU.csdata,"",@progbits
; Kernel info:
; codeLenInByte = 920
; TotalNumSgprs: 25
; NumVgprs: 18
; ScratchSize: 0
; MemoryBound: 0
; FloatMode: 240
; IeeeMode: 1
; LDSByteSize: 0 bytes/workgroup (compile time only)
; SGPRBlocks: 0
; VGPRBlocks: 2
; NumSGPRsForWavesPerEU: 25
; NumVGPRsForWavesPerEU: 18
; Occupancy: 16
; WaveLimiterHint : 0
; COMPUTE_PGM_RSRC2:SCRATCH_EN: 0
; COMPUTE_PGM_RSRC2:USER_SGPR: 6
; COMPUTE_PGM_RSRC2:TRAP_HANDLER: 0
; COMPUTE_PGM_RSRC2:TGID_X_EN: 1
; COMPUTE_PGM_RSRC2:TGID_Y_EN: 0
; COMPUTE_PGM_RSRC2:TGID_Z_EN: 0
; COMPUTE_PGM_RSRC2:TIDIG_COMP_CNT: 0
	.section	.text._ZN9rocsparseL19csxsldu_fill_kernelILj1024EL20rocsparse_diag_type_0ELS1_1EiiiEEvT4_PKT3_PKS2_PKT2_21rocsparse_index_base_S5_PS2_PS8_SB_S5_SC_SD_SB_SD_,"axG",@progbits,_ZN9rocsparseL19csxsldu_fill_kernelILj1024EL20rocsparse_diag_type_0ELS1_1EiiiEEvT4_PKT3_PKS2_PKT2_21rocsparse_index_base_S5_PS2_PS8_SB_S5_SC_SD_SB_SD_,comdat
	.globl	_ZN9rocsparseL19csxsldu_fill_kernelILj1024EL20rocsparse_diag_type_0ELS1_1EiiiEEvT4_PKT3_PKS2_PKT2_21rocsparse_index_base_S5_PS2_PS8_SB_S5_SC_SD_SB_SD_ ; -- Begin function _ZN9rocsparseL19csxsldu_fill_kernelILj1024EL20rocsparse_diag_type_0ELS1_1EiiiEEvT4_PKT3_PKS2_PKT2_21rocsparse_index_base_S5_PS2_PS8_SB_S5_SC_SD_SB_SD_
	.p2align	8
	.type	_ZN9rocsparseL19csxsldu_fill_kernelILj1024EL20rocsparse_diag_type_0ELS1_1EiiiEEvT4_PKT3_PKS2_PKT2_21rocsparse_index_base_S5_PS2_PS8_SB_S5_SC_SD_SB_SD_,@function
_ZN9rocsparseL19csxsldu_fill_kernelILj1024EL20rocsparse_diag_type_0ELS1_1EiiiEEvT4_PKT3_PKS2_PKT2_21rocsparse_index_base_S5_PS2_PS8_SB_S5_SC_SD_SB_SD_: ; @_ZN9rocsparseL19csxsldu_fill_kernelILj1024EL20rocsparse_diag_type_0ELS1_1EiiiEEvT4_PKT3_PKS2_PKT2_21rocsparse_index_base_S5_PS2_PS8_SB_S5_SC_SD_SB_SD_
; %bb.0:
	s_clause 0x1
	s_load_dword s0, s[4:5], 0x7c
	s_load_dword s1, s[4:5], 0x0
	s_waitcnt lgkmcnt(0)
	s_and_b32 s0, s0, 0xffff
	v_mad_u64_u32 v[2:3], null, s6, s0, v[0:1]
	s_mov_b32 s0, exec_lo
	v_cmpx_gt_i32_e64 s1, v2
	s_cbranch_execz .LBB2_10
; %bb.1:
	s_clause 0x1
	s_load_dwordx4 s[8:11], s[4:5], 0x8
	s_load_dwordx4 s[0:3], s[4:5], 0x48
	v_ashrrev_i32_e32 v3, 31, v2
	s_load_dwordx2 s[16:17], s[4:5], 0x18
	s_mov_b32 s18, exec_lo
	v_lshlrev_b64 v[3:4], 2, v[2:3]
	s_waitcnt lgkmcnt(0)
	v_add_co_u32 v0, vcc_lo, s8, v3
	v_add_co_ci_u32_e64 v1, null, s9, v4, vcc_lo
	global_load_dwordx2 v[5:6], v[0:1], off
	v_add_co_u32 v0, vcc_lo, s0, v3
	v_add_co_ci_u32_e64 v1, null, s1, v4, vcc_lo
	global_load_dword v10, v[0:1], off
	s_clause 0x1
	s_load_dword s1, s[4:5], 0x20
	s_load_dwordx2 s[6:7], s[4:5], 0x58
	s_waitcnt vmcnt(1) lgkmcnt(0)
	v_subrev_nc_u32_e32 v0, s1, v5
	v_subrev_nc_u32_e32 v9, s1, v6
	v_cmpx_lt_i32_e64 v5, v6
	s_cbranch_execz .LBB2_7
; %bb.2:
	s_clause 0x1
	s_load_dwordx4 s[12:15], s[4:5], 0x28
	s_load_dwordx2 s[8:9], s[4:5], 0x38
	v_ashrrev_i32_e32 v1, 31, v0
                                        ; implicit-def: $sgpr19
	v_lshlrev_b64 v[5:6], 2, v[0:1]
	s_waitcnt lgkmcnt(0)
	v_add_co_u32 v3, vcc_lo, s12, v3
	v_add_co_ci_u32_e64 v4, null, s13, v4, vcc_lo
	s_load_dword s12, s[4:5], 0x40
	s_mov_b32 s13, 0
	global_load_dword v7, v[3:4], off
	v_add_co_u32 v3, vcc_lo, s10, v5
	v_add_co_ci_u32_e64 v4, null, s11, v6, vcc_lo
	v_add_co_u32 v5, vcc_lo, s16, v5
	v_add_co_ci_u32_e64 v6, null, s17, v6, vcc_lo
	s_waitcnt vmcnt(0) lgkmcnt(0)
	v_subrev_nc_u32_e32 v7, s12, v7
	s_inst_prefetch 0x1
	s_branch .LBB2_4
	.p2align	6
.LBB2_3:                                ;   in Loop: Header=BB2_4 Depth=1
	s_or_b32 exec_lo, exec_lo, s20
	s_and_b32 s0, exec_lo, s19
	s_or_b32 s13, s0, s13
	s_andn2_b32 exec_lo, exec_lo, s13
	s_cbranch_execz .LBB2_6
.LBB2_4:                                ; =>This Inner Loop Header: Depth=1
	global_load_dword v1, v[3:4], off
	s_or_b32 s19, s19, exec_lo
	s_mov_b32 s20, exec_lo
	s_waitcnt vmcnt(0)
	v_subrev_nc_u32_e32 v1, s1, v1
	v_cmpx_ge_i32_e64 v2, v1
	s_cbranch_execz .LBB2_3
; %bb.5:                                ;   in Loop: Header=BB2_4 Depth=1
	v_ashrrev_i32_e32 v8, 31, v7
	v_add_nc_u32_e32 v1, s12, v1
	v_add_nc_u32_e32 v0, 1, v0
	v_lshlrev_b64 v[11:12], 2, v[7:8]
	v_add_nc_u32_e32 v7, 1, v7
	v_add_co_u32 v13, vcc_lo, s14, v11
	v_add_co_ci_u32_e64 v14, null, s15, v12, vcc_lo
	v_add_co_u32 v11, vcc_lo, s8, v11
	v_add_co_ci_u32_e64 v12, null, s9, v12, vcc_lo
	global_store_dword v[13:14], v1, off
	global_load_dword v1, v[5:6], off
	v_add_co_u32 v3, vcc_lo, v3, 4
	v_add_co_ci_u32_e64 v4, null, 0, v4, vcc_lo
	v_cmp_ge_i32_e32 vcc_lo, v0, v9
	v_add_co_u32 v5, s0, v5, 4
	v_add_co_ci_u32_e64 v6, null, 0, v6, s0
	s_andn2_b32 s0, s19, exec_lo
	s_and_b32 s19, vcc_lo, exec_lo
	s_or_b32 s19, s0, s19
	s_waitcnt vmcnt(0)
	global_store_dword v[11:12], v1, off
	s_branch .LBB2_3
.LBB2_6:
	s_inst_prefetch 0x2
	s_or_b32 exec_lo, exec_lo, s13
.LBB2_7:
	s_or_b32 exec_lo, exec_lo, s18
	v_cmp_lt_i32_e32 vcc_lo, v0, v9
	s_and_b32 exec_lo, exec_lo, vcc_lo
	s_cbranch_execz .LBB2_10
; %bb.8:
	s_load_dword s0, s[4:5], 0x60
	v_ashrrev_i32_e32 v1, 31, v0
	s_mov_b32 s4, 0
	v_lshlrev_b64 v[3:4], 2, v[0:1]
	v_add_co_u32 v1, vcc_lo, s10, v3
	v_add_co_ci_u32_e64 v2, null, s11, v4, vcc_lo
	v_add_co_u32 v3, vcc_lo, s16, v3
	v_add_co_ci_u32_e64 v4, null, s17, v4, vcc_lo
	s_waitcnt vmcnt(0) lgkmcnt(0)
	v_subrev_nc_u32_e32 v5, s0, v10
	s_sub_i32 s1, s0, s1
	s_inst_prefetch 0x1
	.p2align	6
.LBB2_9:                                ; =>This Inner Loop Header: Depth=1
	global_load_dword v8, v[1:2], off
	v_ashrrev_i32_e32 v6, 31, v5
	v_add_nc_u32_e32 v0, 1, v0
	v_lshlrev_b64 v[6:7], 2, v[5:6]
	v_add_nc_u32_e32 v5, 1, v5
	v_add_co_u32 v10, vcc_lo, s2, v6
	v_add_co_ci_u32_e64 v11, null, s3, v7, vcc_lo
	v_add_co_u32 v1, vcc_lo, v1, 4
	v_add_co_u32 v6, s0, s6, v6
	v_add_co_ci_u32_e64 v2, null, 0, v2, vcc_lo
	v_cmp_ge_i32_e32 vcc_lo, v0, v9
	v_add_co_ci_u32_e64 v7, null, s7, v7, s0
	s_or_b32 s4, vcc_lo, s4
	s_waitcnt vmcnt(0)
	v_add_nc_u32_e32 v8, s1, v8
	global_store_dword v[10:11], v8, off
	global_load_dword v8, v[3:4], off
	v_add_co_u32 v3, s0, v3, 4
	v_add_co_ci_u32_e64 v4, null, 0, v4, s0
	s_waitcnt vmcnt(0)
	global_store_dword v[6:7], v8, off
	s_andn2_b32 exec_lo, exec_lo, s4
	s_cbranch_execnz .LBB2_9
.LBB2_10:
	s_inst_prefetch 0x2
	s_endpgm
	.section	.rodata,"a",@progbits
	.p2align	6, 0x0
	.amdhsa_kernel _ZN9rocsparseL19csxsldu_fill_kernelILj1024EL20rocsparse_diag_type_0ELS1_1EiiiEEvT4_PKT3_PKS2_PKT2_21rocsparse_index_base_S5_PS2_PS8_SB_S5_SC_SD_SB_SD_
		.amdhsa_group_segment_fixed_size 0
		.amdhsa_private_segment_fixed_size 0
		.amdhsa_kernarg_size 368
		.amdhsa_user_sgpr_count 6
		.amdhsa_user_sgpr_private_segment_buffer 1
		.amdhsa_user_sgpr_dispatch_ptr 0
		.amdhsa_user_sgpr_queue_ptr 0
		.amdhsa_user_sgpr_kernarg_segment_ptr 1
		.amdhsa_user_sgpr_dispatch_id 0
		.amdhsa_user_sgpr_flat_scratch_init 0
		.amdhsa_user_sgpr_private_segment_size 0
		.amdhsa_wavefront_size32 1
		.amdhsa_uses_dynamic_stack 0
		.amdhsa_system_sgpr_private_segment_wavefront_offset 0
		.amdhsa_system_sgpr_workgroup_id_x 1
		.amdhsa_system_sgpr_workgroup_id_y 0
		.amdhsa_system_sgpr_workgroup_id_z 0
		.amdhsa_system_sgpr_workgroup_info 0
		.amdhsa_system_vgpr_workitem_id 0
		.amdhsa_next_free_vgpr 15
		.amdhsa_next_free_sgpr 21
		.amdhsa_reserve_vcc 1
		.amdhsa_reserve_flat_scratch 0
		.amdhsa_float_round_mode_32 0
		.amdhsa_float_round_mode_16_64 0
		.amdhsa_float_denorm_mode_32 3
		.amdhsa_float_denorm_mode_16_64 3
		.amdhsa_dx10_clamp 1
		.amdhsa_ieee_mode 1
		.amdhsa_fp16_overflow 0
		.amdhsa_workgroup_processor_mode 1
		.amdhsa_memory_ordered 1
		.amdhsa_forward_progress 1
		.amdhsa_shared_vgpr_count 0
		.amdhsa_exception_fp_ieee_invalid_op 0
		.amdhsa_exception_fp_denorm_src 0
		.amdhsa_exception_fp_ieee_div_zero 0
		.amdhsa_exception_fp_ieee_overflow 0
		.amdhsa_exception_fp_ieee_underflow 0
		.amdhsa_exception_fp_ieee_inexact 0
		.amdhsa_exception_int_div_zero 0
	.end_amdhsa_kernel
	.section	.text._ZN9rocsparseL19csxsldu_fill_kernelILj1024EL20rocsparse_diag_type_0ELS1_1EiiiEEvT4_PKT3_PKS2_PKT2_21rocsparse_index_base_S5_PS2_PS8_SB_S5_SC_SD_SB_SD_,"axG",@progbits,_ZN9rocsparseL19csxsldu_fill_kernelILj1024EL20rocsparse_diag_type_0ELS1_1EiiiEEvT4_PKT3_PKS2_PKT2_21rocsparse_index_base_S5_PS2_PS8_SB_S5_SC_SD_SB_SD_,comdat
.Lfunc_end2:
	.size	_ZN9rocsparseL19csxsldu_fill_kernelILj1024EL20rocsparse_diag_type_0ELS1_1EiiiEEvT4_PKT3_PKS2_PKT2_21rocsparse_index_base_S5_PS2_PS8_SB_S5_SC_SD_SB_SD_, .Lfunc_end2-_ZN9rocsparseL19csxsldu_fill_kernelILj1024EL20rocsparse_diag_type_0ELS1_1EiiiEEvT4_PKT3_PKS2_PKT2_21rocsparse_index_base_S5_PS2_PS8_SB_S5_SC_SD_SB_SD_
                                        ; -- End function
	.set _ZN9rocsparseL19csxsldu_fill_kernelILj1024EL20rocsparse_diag_type_0ELS1_1EiiiEEvT4_PKT3_PKS2_PKT2_21rocsparse_index_base_S5_PS2_PS8_SB_S5_SC_SD_SB_SD_.num_vgpr, 15
	.set _ZN9rocsparseL19csxsldu_fill_kernelILj1024EL20rocsparse_diag_type_0ELS1_1EiiiEEvT4_PKT3_PKS2_PKT2_21rocsparse_index_base_S5_PS2_PS8_SB_S5_SC_SD_SB_SD_.num_agpr, 0
	.set _ZN9rocsparseL19csxsldu_fill_kernelILj1024EL20rocsparse_diag_type_0ELS1_1EiiiEEvT4_PKT3_PKS2_PKT2_21rocsparse_index_base_S5_PS2_PS8_SB_S5_SC_SD_SB_SD_.numbered_sgpr, 21
	.set _ZN9rocsparseL19csxsldu_fill_kernelILj1024EL20rocsparse_diag_type_0ELS1_1EiiiEEvT4_PKT3_PKS2_PKT2_21rocsparse_index_base_S5_PS2_PS8_SB_S5_SC_SD_SB_SD_.num_named_barrier, 0
	.set _ZN9rocsparseL19csxsldu_fill_kernelILj1024EL20rocsparse_diag_type_0ELS1_1EiiiEEvT4_PKT3_PKS2_PKT2_21rocsparse_index_base_S5_PS2_PS8_SB_S5_SC_SD_SB_SD_.private_seg_size, 0
	.set _ZN9rocsparseL19csxsldu_fill_kernelILj1024EL20rocsparse_diag_type_0ELS1_1EiiiEEvT4_PKT3_PKS2_PKT2_21rocsparse_index_base_S5_PS2_PS8_SB_S5_SC_SD_SB_SD_.uses_vcc, 1
	.set _ZN9rocsparseL19csxsldu_fill_kernelILj1024EL20rocsparse_diag_type_0ELS1_1EiiiEEvT4_PKT3_PKS2_PKT2_21rocsparse_index_base_S5_PS2_PS8_SB_S5_SC_SD_SB_SD_.uses_flat_scratch, 0
	.set _ZN9rocsparseL19csxsldu_fill_kernelILj1024EL20rocsparse_diag_type_0ELS1_1EiiiEEvT4_PKT3_PKS2_PKT2_21rocsparse_index_base_S5_PS2_PS8_SB_S5_SC_SD_SB_SD_.has_dyn_sized_stack, 0
	.set _ZN9rocsparseL19csxsldu_fill_kernelILj1024EL20rocsparse_diag_type_0ELS1_1EiiiEEvT4_PKT3_PKS2_PKT2_21rocsparse_index_base_S5_PS2_PS8_SB_S5_SC_SD_SB_SD_.has_recursion, 0
	.set _ZN9rocsparseL19csxsldu_fill_kernelILj1024EL20rocsparse_diag_type_0ELS1_1EiiiEEvT4_PKT3_PKS2_PKT2_21rocsparse_index_base_S5_PS2_PS8_SB_S5_SC_SD_SB_SD_.has_indirect_call, 0
	.section	.AMDGPU.csdata,"",@progbits
; Kernel info:
; codeLenInByte = 792
; TotalNumSgprs: 23
; NumVgprs: 15
; ScratchSize: 0
; MemoryBound: 0
; FloatMode: 240
; IeeeMode: 1
; LDSByteSize: 0 bytes/workgroup (compile time only)
; SGPRBlocks: 0
; VGPRBlocks: 1
; NumSGPRsForWavesPerEU: 23
; NumVGPRsForWavesPerEU: 15
; Occupancy: 16
; WaveLimiterHint : 0
; COMPUTE_PGM_RSRC2:SCRATCH_EN: 0
; COMPUTE_PGM_RSRC2:USER_SGPR: 6
; COMPUTE_PGM_RSRC2:TRAP_HANDLER: 0
; COMPUTE_PGM_RSRC2:TGID_X_EN: 1
; COMPUTE_PGM_RSRC2:TGID_Y_EN: 0
; COMPUTE_PGM_RSRC2:TGID_Z_EN: 0
; COMPUTE_PGM_RSRC2:TIDIG_COMP_CNT: 0
	.section	.text._ZN9rocsparseL19csxsldu_fill_kernelILj1024EL20rocsparse_diag_type_1ELS1_0EfiiEEvT4_PKT3_PKS2_PKT2_21rocsparse_index_base_S5_PS2_PS8_SB_S5_SC_SD_SB_SD_,"axG",@progbits,_ZN9rocsparseL19csxsldu_fill_kernelILj1024EL20rocsparse_diag_type_1ELS1_0EfiiEEvT4_PKT3_PKS2_PKT2_21rocsparse_index_base_S5_PS2_PS8_SB_S5_SC_SD_SB_SD_,comdat
	.globl	_ZN9rocsparseL19csxsldu_fill_kernelILj1024EL20rocsparse_diag_type_1ELS1_0EfiiEEvT4_PKT3_PKS2_PKT2_21rocsparse_index_base_S5_PS2_PS8_SB_S5_SC_SD_SB_SD_ ; -- Begin function _ZN9rocsparseL19csxsldu_fill_kernelILj1024EL20rocsparse_diag_type_1ELS1_0EfiiEEvT4_PKT3_PKS2_PKT2_21rocsparse_index_base_S5_PS2_PS8_SB_S5_SC_SD_SB_SD_
	.p2align	8
	.type	_ZN9rocsparseL19csxsldu_fill_kernelILj1024EL20rocsparse_diag_type_1ELS1_0EfiiEEvT4_PKT3_PKS2_PKT2_21rocsparse_index_base_S5_PS2_PS8_SB_S5_SC_SD_SB_SD_,@function
_ZN9rocsparseL19csxsldu_fill_kernelILj1024EL20rocsparse_diag_type_1ELS1_0EfiiEEvT4_PKT3_PKS2_PKT2_21rocsparse_index_base_S5_PS2_PS8_SB_S5_SC_SD_SB_SD_: ; @_ZN9rocsparseL19csxsldu_fill_kernelILj1024EL20rocsparse_diag_type_1ELS1_0EfiiEEvT4_PKT3_PKS2_PKT2_21rocsparse_index_base_S5_PS2_PS8_SB_S5_SC_SD_SB_SD_
; %bb.0:
	s_clause 0x1
	s_load_dword s0, s[4:5], 0x7c
	s_load_dword s1, s[4:5], 0x0
	s_waitcnt lgkmcnt(0)
	s_and_b32 s0, s0, 0xffff
	v_mad_u64_u32 v[2:3], null, s6, s0, v[0:1]
	s_mov_b32 s0, exec_lo
	v_cmpx_gt_i32_e64 s1, v2
	s_cbranch_execz .LBB3_10
; %bb.1:
	s_clause 0x1
	s_load_dwordx4 s[8:11], s[4:5], 0x8
	s_load_dwordx4 s[0:3], s[4:5], 0x48
	v_ashrrev_i32_e32 v3, 31, v2
	s_load_dwordx2 s[16:17], s[4:5], 0x18
	s_mov_b32 s18, exec_lo
	v_lshlrev_b64 v[3:4], 2, v[2:3]
	s_waitcnt lgkmcnt(0)
	v_add_co_u32 v0, vcc_lo, s8, v3
	v_add_co_ci_u32_e64 v1, null, s9, v4, vcc_lo
	global_load_dwordx2 v[5:6], v[0:1], off
	v_add_co_u32 v0, vcc_lo, s0, v3
	v_add_co_ci_u32_e64 v1, null, s1, v4, vcc_lo
	global_load_dword v10, v[0:1], off
	s_clause 0x1
	s_load_dword s1, s[4:5], 0x20
	s_load_dwordx2 s[6:7], s[4:5], 0x58
	s_waitcnt vmcnt(1) lgkmcnt(0)
	v_subrev_nc_u32_e32 v0, s1, v5
	v_subrev_nc_u32_e32 v9, s1, v6
	v_cmpx_lt_i32_e64 v5, v6
	s_cbranch_execz .LBB3_7
; %bb.2:
	s_clause 0x1
	s_load_dwordx4 s[12:15], s[4:5], 0x28
	s_load_dwordx2 s[8:9], s[4:5], 0x38
	v_ashrrev_i32_e32 v1, 31, v0
                                        ; implicit-def: $sgpr19
	v_lshlrev_b64 v[5:6], 2, v[0:1]
	s_waitcnt lgkmcnt(0)
	v_add_co_u32 v3, vcc_lo, s12, v3
	v_add_co_ci_u32_e64 v4, null, s13, v4, vcc_lo
	s_load_dword s12, s[4:5], 0x40
	s_mov_b32 s13, 0
	global_load_dword v7, v[3:4], off
	v_add_co_u32 v3, vcc_lo, s10, v5
	v_add_co_ci_u32_e64 v4, null, s11, v6, vcc_lo
	v_add_co_u32 v5, vcc_lo, s16, v5
	v_add_co_ci_u32_e64 v6, null, s17, v6, vcc_lo
	s_waitcnt vmcnt(0) lgkmcnt(0)
	v_subrev_nc_u32_e32 v7, s12, v7
	s_inst_prefetch 0x1
	s_branch .LBB3_4
	.p2align	6
.LBB3_3:                                ;   in Loop: Header=BB3_4 Depth=1
	s_or_b32 exec_lo, exec_lo, s20
	s_and_b32 s0, exec_lo, s19
	s_or_b32 s13, s0, s13
	s_andn2_b32 exec_lo, exec_lo, s13
	s_cbranch_execz .LBB3_6
.LBB3_4:                                ; =>This Inner Loop Header: Depth=1
	global_load_dword v1, v[3:4], off
	s_or_b32 s19, s19, exec_lo
	s_mov_b32 s20, exec_lo
	s_waitcnt vmcnt(0)
	v_subrev_nc_u32_e32 v1, s1, v1
	v_cmpx_gt_i32_e64 v2, v1
	s_cbranch_execz .LBB3_3
; %bb.5:                                ;   in Loop: Header=BB3_4 Depth=1
	global_load_dword v15, v[5:6], off
	v_ashrrev_i32_e32 v8, 31, v7
	v_add_nc_u32_e32 v0, 1, v0
	v_add_co_u32 v5, s0, v5, 4
	v_add_nc_u32_e32 v1, s12, v1
	v_lshlrev_b64 v[11:12], 2, v[7:8]
	v_add_co_ci_u32_e64 v6, null, 0, v6, s0
	v_add_nc_u32_e32 v7, 1, v7
	s_andn2_b32 s0, s19, exec_lo
	v_add_co_u32 v13, vcc_lo, s8, v11
	v_add_co_ci_u32_e64 v14, null, s9, v12, vcc_lo
	v_add_co_u32 v11, vcc_lo, s14, v11
	v_add_co_ci_u32_e64 v12, null, s15, v12, vcc_lo
	;; [unrolled: 2-line block ×3, first 2 shown]
	v_cmp_ge_i32_e32 vcc_lo, v0, v9
	global_store_dword v[11:12], v1, off
	s_and_b32 s19, vcc_lo, exec_lo
	s_or_b32 s19, s0, s19
	s_waitcnt vmcnt(0)
	global_store_dword v[13:14], v15, off
	s_branch .LBB3_3
.LBB3_6:
	s_inst_prefetch 0x2
	s_or_b32 exec_lo, exec_lo, s13
.LBB3_7:
	s_or_b32 exec_lo, exec_lo, s18
	v_cmp_lt_i32_e32 vcc_lo, v0, v9
	s_and_b32 exec_lo, exec_lo, vcc_lo
	s_cbranch_execz .LBB3_10
; %bb.8:
	s_load_dword s0, s[4:5], 0x60
	v_ashrrev_i32_e32 v1, 31, v0
	s_mov_b32 s4, 0
	v_lshlrev_b64 v[3:4], 2, v[0:1]
	v_add_co_u32 v1, vcc_lo, s10, v3
	v_add_co_ci_u32_e64 v2, null, s11, v4, vcc_lo
	v_add_co_u32 v3, vcc_lo, s16, v3
	v_add_co_ci_u32_e64 v4, null, s17, v4, vcc_lo
	s_waitcnt vmcnt(0) lgkmcnt(0)
	v_subrev_nc_u32_e32 v5, s0, v10
	s_sub_i32 s1, s0, s1
	s_inst_prefetch 0x1
	.p2align	6
.LBB3_9:                                ; =>This Inner Loop Header: Depth=1
	global_load_dword v8, v[1:2], off
	global_load_dword v12, v[3:4], off
	v_ashrrev_i32_e32 v6, 31, v5
	v_add_nc_u32_e32 v0, 1, v0
	v_add_co_u32 v1, vcc_lo, v1, 4
	v_add_co_ci_u32_e64 v2, null, 0, v2, vcc_lo
	v_lshlrev_b64 v[6:7], 2, v[5:6]
	v_add_co_u32 v3, vcc_lo, v3, 4
	v_add_co_ci_u32_e64 v4, null, 0, v4, vcc_lo
	v_cmp_ge_i32_e32 vcc_lo, v0, v9
	v_add_co_u32 v10, s0, s2, v6
	v_add_co_ci_u32_e64 v11, null, s3, v7, s0
	v_add_co_u32 v6, s0, s6, v6
	v_add_co_ci_u32_e64 v7, null, s7, v7, s0
	v_add_nc_u32_e32 v5, 1, v5
	s_or_b32 s4, vcc_lo, s4
	s_waitcnt vmcnt(1)
	v_add_nc_u32_e32 v8, s1, v8
	s_waitcnt vmcnt(0)
	global_store_dword v[6:7], v12, off
	global_store_dword v[10:11], v8, off
	s_andn2_b32 exec_lo, exec_lo, s4
	s_cbranch_execnz .LBB3_9
.LBB3_10:
	s_inst_prefetch 0x2
	s_endpgm
	.section	.rodata,"a",@progbits
	.p2align	6, 0x0
	.amdhsa_kernel _ZN9rocsparseL19csxsldu_fill_kernelILj1024EL20rocsparse_diag_type_1ELS1_0EfiiEEvT4_PKT3_PKS2_PKT2_21rocsparse_index_base_S5_PS2_PS8_SB_S5_SC_SD_SB_SD_
		.amdhsa_group_segment_fixed_size 0
		.amdhsa_private_segment_fixed_size 0
		.amdhsa_kernarg_size 368
		.amdhsa_user_sgpr_count 6
		.amdhsa_user_sgpr_private_segment_buffer 1
		.amdhsa_user_sgpr_dispatch_ptr 0
		.amdhsa_user_sgpr_queue_ptr 0
		.amdhsa_user_sgpr_kernarg_segment_ptr 1
		.amdhsa_user_sgpr_dispatch_id 0
		.amdhsa_user_sgpr_flat_scratch_init 0
		.amdhsa_user_sgpr_private_segment_size 0
		.amdhsa_wavefront_size32 1
		.amdhsa_uses_dynamic_stack 0
		.amdhsa_system_sgpr_private_segment_wavefront_offset 0
		.amdhsa_system_sgpr_workgroup_id_x 1
		.amdhsa_system_sgpr_workgroup_id_y 0
		.amdhsa_system_sgpr_workgroup_id_z 0
		.amdhsa_system_sgpr_workgroup_info 0
		.amdhsa_system_vgpr_workitem_id 0
		.amdhsa_next_free_vgpr 16
		.amdhsa_next_free_sgpr 21
		.amdhsa_reserve_vcc 1
		.amdhsa_reserve_flat_scratch 0
		.amdhsa_float_round_mode_32 0
		.amdhsa_float_round_mode_16_64 0
		.amdhsa_float_denorm_mode_32 3
		.amdhsa_float_denorm_mode_16_64 3
		.amdhsa_dx10_clamp 1
		.amdhsa_ieee_mode 1
		.amdhsa_fp16_overflow 0
		.amdhsa_workgroup_processor_mode 1
		.amdhsa_memory_ordered 1
		.amdhsa_forward_progress 1
		.amdhsa_shared_vgpr_count 0
		.amdhsa_exception_fp_ieee_invalid_op 0
		.amdhsa_exception_fp_denorm_src 0
		.amdhsa_exception_fp_ieee_div_zero 0
		.amdhsa_exception_fp_ieee_overflow 0
		.amdhsa_exception_fp_ieee_underflow 0
		.amdhsa_exception_fp_ieee_inexact 0
		.amdhsa_exception_int_div_zero 0
	.end_amdhsa_kernel
	.section	.text._ZN9rocsparseL19csxsldu_fill_kernelILj1024EL20rocsparse_diag_type_1ELS1_0EfiiEEvT4_PKT3_PKS2_PKT2_21rocsparse_index_base_S5_PS2_PS8_SB_S5_SC_SD_SB_SD_,"axG",@progbits,_ZN9rocsparseL19csxsldu_fill_kernelILj1024EL20rocsparse_diag_type_1ELS1_0EfiiEEvT4_PKT3_PKS2_PKT2_21rocsparse_index_base_S5_PS2_PS8_SB_S5_SC_SD_SB_SD_,comdat
.Lfunc_end3:
	.size	_ZN9rocsparseL19csxsldu_fill_kernelILj1024EL20rocsparse_diag_type_1ELS1_0EfiiEEvT4_PKT3_PKS2_PKT2_21rocsparse_index_base_S5_PS2_PS8_SB_S5_SC_SD_SB_SD_, .Lfunc_end3-_ZN9rocsparseL19csxsldu_fill_kernelILj1024EL20rocsparse_diag_type_1ELS1_0EfiiEEvT4_PKT3_PKS2_PKT2_21rocsparse_index_base_S5_PS2_PS8_SB_S5_SC_SD_SB_SD_
                                        ; -- End function
	.set _ZN9rocsparseL19csxsldu_fill_kernelILj1024EL20rocsparse_diag_type_1ELS1_0EfiiEEvT4_PKT3_PKS2_PKT2_21rocsparse_index_base_S5_PS2_PS8_SB_S5_SC_SD_SB_SD_.num_vgpr, 16
	.set _ZN9rocsparseL19csxsldu_fill_kernelILj1024EL20rocsparse_diag_type_1ELS1_0EfiiEEvT4_PKT3_PKS2_PKT2_21rocsparse_index_base_S5_PS2_PS8_SB_S5_SC_SD_SB_SD_.num_agpr, 0
	.set _ZN9rocsparseL19csxsldu_fill_kernelILj1024EL20rocsparse_diag_type_1ELS1_0EfiiEEvT4_PKT3_PKS2_PKT2_21rocsparse_index_base_S5_PS2_PS8_SB_S5_SC_SD_SB_SD_.numbered_sgpr, 21
	.set _ZN9rocsparseL19csxsldu_fill_kernelILj1024EL20rocsparse_diag_type_1ELS1_0EfiiEEvT4_PKT3_PKS2_PKT2_21rocsparse_index_base_S5_PS2_PS8_SB_S5_SC_SD_SB_SD_.num_named_barrier, 0
	.set _ZN9rocsparseL19csxsldu_fill_kernelILj1024EL20rocsparse_diag_type_1ELS1_0EfiiEEvT4_PKT3_PKS2_PKT2_21rocsparse_index_base_S5_PS2_PS8_SB_S5_SC_SD_SB_SD_.private_seg_size, 0
	.set _ZN9rocsparseL19csxsldu_fill_kernelILj1024EL20rocsparse_diag_type_1ELS1_0EfiiEEvT4_PKT3_PKS2_PKT2_21rocsparse_index_base_S5_PS2_PS8_SB_S5_SC_SD_SB_SD_.uses_vcc, 1
	.set _ZN9rocsparseL19csxsldu_fill_kernelILj1024EL20rocsparse_diag_type_1ELS1_0EfiiEEvT4_PKT3_PKS2_PKT2_21rocsparse_index_base_S5_PS2_PS8_SB_S5_SC_SD_SB_SD_.uses_flat_scratch, 0
	.set _ZN9rocsparseL19csxsldu_fill_kernelILj1024EL20rocsparse_diag_type_1ELS1_0EfiiEEvT4_PKT3_PKS2_PKT2_21rocsparse_index_base_S5_PS2_PS8_SB_S5_SC_SD_SB_SD_.has_dyn_sized_stack, 0
	.set _ZN9rocsparseL19csxsldu_fill_kernelILj1024EL20rocsparse_diag_type_1ELS1_0EfiiEEvT4_PKT3_PKS2_PKT2_21rocsparse_index_base_S5_PS2_PS8_SB_S5_SC_SD_SB_SD_.has_recursion, 0
	.set _ZN9rocsparseL19csxsldu_fill_kernelILj1024EL20rocsparse_diag_type_1ELS1_0EfiiEEvT4_PKT3_PKS2_PKT2_21rocsparse_index_base_S5_PS2_PS8_SB_S5_SC_SD_SB_SD_.has_indirect_call, 0
	.section	.AMDGPU.csdata,"",@progbits
; Kernel info:
; codeLenInByte = 792
; TotalNumSgprs: 23
; NumVgprs: 16
; ScratchSize: 0
; MemoryBound: 0
; FloatMode: 240
; IeeeMode: 1
; LDSByteSize: 0 bytes/workgroup (compile time only)
; SGPRBlocks: 0
; VGPRBlocks: 1
; NumSGPRsForWavesPerEU: 23
; NumVGPRsForWavesPerEU: 16
; Occupancy: 16
; WaveLimiterHint : 0
; COMPUTE_PGM_RSRC2:SCRATCH_EN: 0
; COMPUTE_PGM_RSRC2:USER_SGPR: 6
; COMPUTE_PGM_RSRC2:TRAP_HANDLER: 0
; COMPUTE_PGM_RSRC2:TGID_X_EN: 1
; COMPUTE_PGM_RSRC2:TGID_Y_EN: 0
; COMPUTE_PGM_RSRC2:TGID_Z_EN: 0
; COMPUTE_PGM_RSRC2:TIDIG_COMP_CNT: 0
	.section	.text._ZN9rocsparseL19csxsldu_fill_kernelILj1024EL20rocsparse_diag_type_1ELS1_1EfiiEEvT4_PKT3_PKS2_PKT2_21rocsparse_index_base_S5_PS2_PS8_SB_S5_SC_SD_SB_SD_,"axG",@progbits,_ZN9rocsparseL19csxsldu_fill_kernelILj1024EL20rocsparse_diag_type_1ELS1_1EfiiEEvT4_PKT3_PKS2_PKT2_21rocsparse_index_base_S5_PS2_PS8_SB_S5_SC_SD_SB_SD_,comdat
	.globl	_ZN9rocsparseL19csxsldu_fill_kernelILj1024EL20rocsparse_diag_type_1ELS1_1EfiiEEvT4_PKT3_PKS2_PKT2_21rocsparse_index_base_S5_PS2_PS8_SB_S5_SC_SD_SB_SD_ ; -- Begin function _ZN9rocsparseL19csxsldu_fill_kernelILj1024EL20rocsparse_diag_type_1ELS1_1EfiiEEvT4_PKT3_PKS2_PKT2_21rocsparse_index_base_S5_PS2_PS8_SB_S5_SC_SD_SB_SD_
	.p2align	8
	.type	_ZN9rocsparseL19csxsldu_fill_kernelILj1024EL20rocsparse_diag_type_1ELS1_1EfiiEEvT4_PKT3_PKS2_PKT2_21rocsparse_index_base_S5_PS2_PS8_SB_S5_SC_SD_SB_SD_,@function
_ZN9rocsparseL19csxsldu_fill_kernelILj1024EL20rocsparse_diag_type_1ELS1_1EfiiEEvT4_PKT3_PKS2_PKT2_21rocsparse_index_base_S5_PS2_PS8_SB_S5_SC_SD_SB_SD_: ; @_ZN9rocsparseL19csxsldu_fill_kernelILj1024EL20rocsparse_diag_type_1ELS1_1EfiiEEvT4_PKT3_PKS2_PKT2_21rocsparse_index_base_S5_PS2_PS8_SB_S5_SC_SD_SB_SD_
; %bb.0:
	s_clause 0x1
	s_load_dword s0, s[4:5], 0x7c
	s_load_dword s1, s[4:5], 0x0
	s_waitcnt lgkmcnt(0)
	s_and_b32 s0, s0, 0xffff
	v_mad_u64_u32 v[4:5], null, s6, s0, v[0:1]
	s_mov_b32 s0, exec_lo
	v_cmpx_gt_i32_e64 s1, v4
	s_cbranch_execz .LBB4_14
; %bb.1:
	s_clause 0x1
	s_load_dwordx4 s[8:11], s[4:5], 0x8
	s_load_dwordx4 s[0:3], s[4:5], 0x48
	v_ashrrev_i32_e32 v5, 31, v4
	s_load_dwordx2 s[16:17], s[4:5], 0x18
	s_mov_b32 s18, exec_lo
	v_lshlrev_b64 v[2:3], 2, v[4:5]
	s_waitcnt lgkmcnt(0)
	v_add_co_u32 v0, vcc_lo, s8, v2
	v_add_co_ci_u32_e64 v1, null, s9, v3, vcc_lo
	global_load_dwordx2 v[5:6], v[0:1], off
	v_add_co_u32 v0, vcc_lo, s0, v2
	v_add_co_ci_u32_e64 v1, null, s1, v3, vcc_lo
	global_load_dword v14, v[0:1], off
	s_clause 0x1
	s_load_dword s1, s[4:5], 0x20
	s_load_dwordx2 s[6:7], s[4:5], 0x58
	s_waitcnt vmcnt(1) lgkmcnt(0)
	v_subrev_nc_u32_e32 v0, s1, v5
	v_subrev_nc_u32_e32 v13, s1, v6
	v_cmpx_lt_i32_e64 v5, v6
	s_cbranch_execz .LBB4_11
; %bb.2:
	s_clause 0x1
	s_load_dwordx4 s[12:15], s[4:5], 0x28
	s_load_dwordx2 s[8:9], s[4:5], 0x38
	v_ashrrev_i32_e32 v1, 31, v0
	s_mov_b32 s19, 0
                                        ; implicit-def: $sgpr21
                                        ; implicit-def: $sgpr20
	s_waitcnt lgkmcnt(0)
	v_add_co_u32 v5, vcc_lo, s12, v2
	v_add_co_ci_u32_e64 v6, null, s13, v3, vcc_lo
	s_load_dword s12, s[4:5], 0x40
                                        ; implicit-def: $sgpr13
	global_load_dword v11, v[5:6], off
	v_lshlrev_b64 v[5:6], 2, v[0:1]
	v_add_co_u32 v7, vcc_lo, s10, v5
	v_add_co_ci_u32_e64 v8, null, s11, v6, vcc_lo
	v_add_co_u32 v9, vcc_lo, s16, v5
	v_add_co_ci_u32_e64 v10, null, s17, v6, vcc_lo
	s_waitcnt vmcnt(0) lgkmcnt(0)
	v_subrev_nc_u32_e32 v11, s12, v11
	s_branch .LBB4_4
.LBB4_3:                                ;   in Loop: Header=BB4_4 Depth=1
	s_or_b32 exec_lo, exec_lo, s22
	s_and_b32 s0, exec_lo, s21
	s_or_b32 s19, s0, s19
	s_andn2_b32 s0, s13, exec_lo
	s_and_b32 s13, s20, exec_lo
	s_or_b32 s13, s0, s13
	s_andn2_b32 exec_lo, exec_lo, s19
	s_cbranch_execz .LBB4_6
.LBB4_4:                                ; =>This Inner Loop Header: Depth=1
	global_load_dword v5, v[7:8], off
	s_or_b32 s20, s20, exec_lo
	s_or_b32 s21, s21, exec_lo
	s_mov_b32 s22, exec_lo
	s_waitcnt vmcnt(0)
	v_subrev_nc_u32_e32 v15, s1, v5
	v_mov_b32_e32 v6, v1
	v_mov_b32_e32 v5, v0
                                        ; implicit-def: $vgpr0_vgpr1
	v_cmpx_gt_i32_e64 v4, v15
	s_cbranch_execz .LBB4_3
; %bb.5:                                ;   in Loop: Header=BB4_4 Depth=1
	global_load_dword v20, v[9:10], off
	v_ashrrev_i32_e32 v12, 31, v11
	v_add_co_u32 v9, s0, v9, 4
	v_add_co_ci_u32_e64 v10, null, 0, v10, s0
	v_lshlrev_b64 v[0:1], 2, v[11:12]
	v_add_nc_u32_e32 v12, s12, v15
	v_add_nc_u32_e32 v11, 1, v11
	s_andn2_b32 s0, s21, exec_lo
	s_andn2_b32 s20, s20, exec_lo
	v_add_co_u32 v16, vcc_lo, s14, v0
	v_add_co_ci_u32_e64 v17, null, s15, v1, vcc_lo
	v_add_co_u32 v18, vcc_lo, s8, v0
	v_add_co_ci_u32_e64 v19, null, s9, v1, vcc_lo
	;; [unrolled: 2-line block ×4, first 2 shown]
	v_cmp_ge_i32_e32 vcc_lo, v0, v13
	global_store_dword v[16:17], v12, off
	s_and_b32 s21, vcc_lo, exec_lo
	s_or_b32 s21, s0, s21
	s_waitcnt vmcnt(0)
	global_store_dword v[18:19], v20, off
	s_branch .LBB4_3
.LBB4_6:
	s_or_b32 exec_lo, exec_lo, s19
	s_and_saveexec_b32 s0, s13
	s_xor_b32 s0, exec_lo, s0
	s_cbranch_execz .LBB4_10
; %bb.7:
	s_mov_b32 s8, exec_lo
	v_cmpx_eq_u32_e64 v15, v4
	s_cbranch_execz .LBB4_9
; %bb.8:
	v_lshlrev_b64 v[0:1], 2, v[5:6]
	s_load_dwordx2 s[12:13], s[4:5], 0x68
	v_add_nc_u32_e32 v5, 1, v5
	v_add_co_u32 v0, vcc_lo, s16, v0
	v_add_co_ci_u32_e64 v1, null, s17, v1, vcc_lo
	global_load_dword v4, v[0:1], off
	s_waitcnt lgkmcnt(0)
	v_add_co_u32 v0, vcc_lo, s12, v2
	v_add_co_ci_u32_e64 v1, null, s13, v3, vcc_lo
	s_waitcnt vmcnt(0)
	global_store_dword v[0:1], v4, off
.LBB4_9:
	s_or_b32 exec_lo, exec_lo, s8
	v_mov_b32_e32 v0, v5
.LBB4_10:
	s_or_b32 exec_lo, exec_lo, s0
.LBB4_11:
	s_or_b32 exec_lo, exec_lo, s18
	v_cmp_lt_i32_e32 vcc_lo, v0, v13
	s_and_b32 exec_lo, exec_lo, vcc_lo
	s_cbranch_execz .LBB4_14
; %bb.12:
	s_load_dword s0, s[4:5], 0x60
	v_ashrrev_i32_e32 v1, 31, v0
	s_mov_b32 s4, 0
	v_lshlrev_b64 v[3:4], 2, v[0:1]
	v_add_co_u32 v1, vcc_lo, s10, v3
	v_add_co_ci_u32_e64 v2, null, s11, v4, vcc_lo
	v_add_co_u32 v3, vcc_lo, s16, v3
	v_add_co_ci_u32_e64 v4, null, s17, v4, vcc_lo
	s_waitcnt vmcnt(0) lgkmcnt(0)
	v_subrev_nc_u32_e32 v5, s0, v14
	s_sub_i32 s1, s0, s1
	s_inst_prefetch 0x1
	.p2align	6
.LBB4_13:                               ; =>This Inner Loop Header: Depth=1
	global_load_dword v10, v[1:2], off
	global_load_dword v11, v[3:4], off
	v_ashrrev_i32_e32 v6, 31, v5
	v_add_nc_u32_e32 v0, 1, v0
	v_add_co_u32 v1, vcc_lo, v1, 4
	v_add_co_ci_u32_e64 v2, null, 0, v2, vcc_lo
	v_lshlrev_b64 v[6:7], 2, v[5:6]
	v_add_co_u32 v3, vcc_lo, v3, 4
	v_add_co_ci_u32_e64 v4, null, 0, v4, vcc_lo
	v_cmp_ge_i32_e32 vcc_lo, v0, v13
	v_add_co_u32 v8, s0, s2, v6
	v_add_co_ci_u32_e64 v9, null, s3, v7, s0
	v_add_co_u32 v6, s0, s6, v6
	v_add_co_ci_u32_e64 v7, null, s7, v7, s0
	v_add_nc_u32_e32 v5, 1, v5
	s_or_b32 s4, vcc_lo, s4
	s_waitcnt vmcnt(1)
	v_add_nc_u32_e32 v10, s1, v10
	s_waitcnt vmcnt(0)
	global_store_dword v[6:7], v11, off
	global_store_dword v[8:9], v10, off
	s_andn2_b32 exec_lo, exec_lo, s4
	s_cbranch_execnz .LBB4_13
.LBB4_14:
	s_inst_prefetch 0x2
	s_endpgm
	.section	.rodata,"a",@progbits
	.p2align	6, 0x0
	.amdhsa_kernel _ZN9rocsparseL19csxsldu_fill_kernelILj1024EL20rocsparse_diag_type_1ELS1_1EfiiEEvT4_PKT3_PKS2_PKT2_21rocsparse_index_base_S5_PS2_PS8_SB_S5_SC_SD_SB_SD_
		.amdhsa_group_segment_fixed_size 0
		.amdhsa_private_segment_fixed_size 0
		.amdhsa_kernarg_size 368
		.amdhsa_user_sgpr_count 6
		.amdhsa_user_sgpr_private_segment_buffer 1
		.amdhsa_user_sgpr_dispatch_ptr 0
		.amdhsa_user_sgpr_queue_ptr 0
		.amdhsa_user_sgpr_kernarg_segment_ptr 1
		.amdhsa_user_sgpr_dispatch_id 0
		.amdhsa_user_sgpr_flat_scratch_init 0
		.amdhsa_user_sgpr_private_segment_size 0
		.amdhsa_wavefront_size32 1
		.amdhsa_uses_dynamic_stack 0
		.amdhsa_system_sgpr_private_segment_wavefront_offset 0
		.amdhsa_system_sgpr_workgroup_id_x 1
		.amdhsa_system_sgpr_workgroup_id_y 0
		.amdhsa_system_sgpr_workgroup_id_z 0
		.amdhsa_system_sgpr_workgroup_info 0
		.amdhsa_system_vgpr_workitem_id 0
		.amdhsa_next_free_vgpr 21
		.amdhsa_next_free_sgpr 23
		.amdhsa_reserve_vcc 1
		.amdhsa_reserve_flat_scratch 0
		.amdhsa_float_round_mode_32 0
		.amdhsa_float_round_mode_16_64 0
		.amdhsa_float_denorm_mode_32 3
		.amdhsa_float_denorm_mode_16_64 3
		.amdhsa_dx10_clamp 1
		.amdhsa_ieee_mode 1
		.amdhsa_fp16_overflow 0
		.amdhsa_workgroup_processor_mode 1
		.amdhsa_memory_ordered 1
		.amdhsa_forward_progress 1
		.amdhsa_shared_vgpr_count 0
		.amdhsa_exception_fp_ieee_invalid_op 0
		.amdhsa_exception_fp_denorm_src 0
		.amdhsa_exception_fp_ieee_div_zero 0
		.amdhsa_exception_fp_ieee_overflow 0
		.amdhsa_exception_fp_ieee_underflow 0
		.amdhsa_exception_fp_ieee_inexact 0
		.amdhsa_exception_int_div_zero 0
	.end_amdhsa_kernel
	.section	.text._ZN9rocsparseL19csxsldu_fill_kernelILj1024EL20rocsparse_diag_type_1ELS1_1EfiiEEvT4_PKT3_PKS2_PKT2_21rocsparse_index_base_S5_PS2_PS8_SB_S5_SC_SD_SB_SD_,"axG",@progbits,_ZN9rocsparseL19csxsldu_fill_kernelILj1024EL20rocsparse_diag_type_1ELS1_1EfiiEEvT4_PKT3_PKS2_PKT2_21rocsparse_index_base_S5_PS2_PS8_SB_S5_SC_SD_SB_SD_,comdat
.Lfunc_end4:
	.size	_ZN9rocsparseL19csxsldu_fill_kernelILj1024EL20rocsparse_diag_type_1ELS1_1EfiiEEvT4_PKT3_PKS2_PKT2_21rocsparse_index_base_S5_PS2_PS8_SB_S5_SC_SD_SB_SD_, .Lfunc_end4-_ZN9rocsparseL19csxsldu_fill_kernelILj1024EL20rocsparse_diag_type_1ELS1_1EfiiEEvT4_PKT3_PKS2_PKT2_21rocsparse_index_base_S5_PS2_PS8_SB_S5_SC_SD_SB_SD_
                                        ; -- End function
	.set _ZN9rocsparseL19csxsldu_fill_kernelILj1024EL20rocsparse_diag_type_1ELS1_1EfiiEEvT4_PKT3_PKS2_PKT2_21rocsparse_index_base_S5_PS2_PS8_SB_S5_SC_SD_SB_SD_.num_vgpr, 21
	.set _ZN9rocsparseL19csxsldu_fill_kernelILj1024EL20rocsparse_diag_type_1ELS1_1EfiiEEvT4_PKT3_PKS2_PKT2_21rocsparse_index_base_S5_PS2_PS8_SB_S5_SC_SD_SB_SD_.num_agpr, 0
	.set _ZN9rocsparseL19csxsldu_fill_kernelILj1024EL20rocsparse_diag_type_1ELS1_1EfiiEEvT4_PKT3_PKS2_PKT2_21rocsparse_index_base_S5_PS2_PS8_SB_S5_SC_SD_SB_SD_.numbered_sgpr, 23
	.set _ZN9rocsparseL19csxsldu_fill_kernelILj1024EL20rocsparse_diag_type_1ELS1_1EfiiEEvT4_PKT3_PKS2_PKT2_21rocsparse_index_base_S5_PS2_PS8_SB_S5_SC_SD_SB_SD_.num_named_barrier, 0
	.set _ZN9rocsparseL19csxsldu_fill_kernelILj1024EL20rocsparse_diag_type_1ELS1_1EfiiEEvT4_PKT3_PKS2_PKT2_21rocsparse_index_base_S5_PS2_PS8_SB_S5_SC_SD_SB_SD_.private_seg_size, 0
	.set _ZN9rocsparseL19csxsldu_fill_kernelILj1024EL20rocsparse_diag_type_1ELS1_1EfiiEEvT4_PKT3_PKS2_PKT2_21rocsparse_index_base_S5_PS2_PS8_SB_S5_SC_SD_SB_SD_.uses_vcc, 1
	.set _ZN9rocsparseL19csxsldu_fill_kernelILj1024EL20rocsparse_diag_type_1ELS1_1EfiiEEvT4_PKT3_PKS2_PKT2_21rocsparse_index_base_S5_PS2_PS8_SB_S5_SC_SD_SB_SD_.uses_flat_scratch, 0
	.set _ZN9rocsparseL19csxsldu_fill_kernelILj1024EL20rocsparse_diag_type_1ELS1_1EfiiEEvT4_PKT3_PKS2_PKT2_21rocsparse_index_base_S5_PS2_PS8_SB_S5_SC_SD_SB_SD_.has_dyn_sized_stack, 0
	.set _ZN9rocsparseL19csxsldu_fill_kernelILj1024EL20rocsparse_diag_type_1ELS1_1EfiiEEvT4_PKT3_PKS2_PKT2_21rocsparse_index_base_S5_PS2_PS8_SB_S5_SC_SD_SB_SD_.has_recursion, 0
	.set _ZN9rocsparseL19csxsldu_fill_kernelILj1024EL20rocsparse_diag_type_1ELS1_1EfiiEEvT4_PKT3_PKS2_PKT2_21rocsparse_index_base_S5_PS2_PS8_SB_S5_SC_SD_SB_SD_.has_indirect_call, 0
	.section	.AMDGPU.csdata,"",@progbits
; Kernel info:
; codeLenInByte = 920
; TotalNumSgprs: 25
; NumVgprs: 21
; ScratchSize: 0
; MemoryBound: 0
; FloatMode: 240
; IeeeMode: 1
; LDSByteSize: 0 bytes/workgroup (compile time only)
; SGPRBlocks: 0
; VGPRBlocks: 2
; NumSGPRsForWavesPerEU: 25
; NumVGPRsForWavesPerEU: 21
; Occupancy: 16
; WaveLimiterHint : 0
; COMPUTE_PGM_RSRC2:SCRATCH_EN: 0
; COMPUTE_PGM_RSRC2:USER_SGPR: 6
; COMPUTE_PGM_RSRC2:TRAP_HANDLER: 0
; COMPUTE_PGM_RSRC2:TGID_X_EN: 1
; COMPUTE_PGM_RSRC2:TGID_Y_EN: 0
; COMPUTE_PGM_RSRC2:TGID_Z_EN: 0
; COMPUTE_PGM_RSRC2:TIDIG_COMP_CNT: 0
	.section	.text._ZN9rocsparseL19csxsldu_fill_kernelILj1024EL20rocsparse_diag_type_0ELS1_1EfiiEEvT4_PKT3_PKS2_PKT2_21rocsparse_index_base_S5_PS2_PS8_SB_S5_SC_SD_SB_SD_,"axG",@progbits,_ZN9rocsparseL19csxsldu_fill_kernelILj1024EL20rocsparse_diag_type_0ELS1_1EfiiEEvT4_PKT3_PKS2_PKT2_21rocsparse_index_base_S5_PS2_PS8_SB_S5_SC_SD_SB_SD_,comdat
	.globl	_ZN9rocsparseL19csxsldu_fill_kernelILj1024EL20rocsparse_diag_type_0ELS1_1EfiiEEvT4_PKT3_PKS2_PKT2_21rocsparse_index_base_S5_PS2_PS8_SB_S5_SC_SD_SB_SD_ ; -- Begin function _ZN9rocsparseL19csxsldu_fill_kernelILj1024EL20rocsparse_diag_type_0ELS1_1EfiiEEvT4_PKT3_PKS2_PKT2_21rocsparse_index_base_S5_PS2_PS8_SB_S5_SC_SD_SB_SD_
	.p2align	8
	.type	_ZN9rocsparseL19csxsldu_fill_kernelILj1024EL20rocsparse_diag_type_0ELS1_1EfiiEEvT4_PKT3_PKS2_PKT2_21rocsparse_index_base_S5_PS2_PS8_SB_S5_SC_SD_SB_SD_,@function
_ZN9rocsparseL19csxsldu_fill_kernelILj1024EL20rocsparse_diag_type_0ELS1_1EfiiEEvT4_PKT3_PKS2_PKT2_21rocsparse_index_base_S5_PS2_PS8_SB_S5_SC_SD_SB_SD_: ; @_ZN9rocsparseL19csxsldu_fill_kernelILj1024EL20rocsparse_diag_type_0ELS1_1EfiiEEvT4_PKT3_PKS2_PKT2_21rocsparse_index_base_S5_PS2_PS8_SB_S5_SC_SD_SB_SD_
; %bb.0:
	s_clause 0x1
	s_load_dword s0, s[4:5], 0x7c
	s_load_dword s1, s[4:5], 0x0
	s_waitcnt lgkmcnt(0)
	s_and_b32 s0, s0, 0xffff
	v_mad_u64_u32 v[2:3], null, s6, s0, v[0:1]
	s_mov_b32 s0, exec_lo
	v_cmpx_gt_i32_e64 s1, v2
	s_cbranch_execz .LBB5_10
; %bb.1:
	s_clause 0x1
	s_load_dwordx4 s[8:11], s[4:5], 0x8
	s_load_dwordx4 s[0:3], s[4:5], 0x48
	v_ashrrev_i32_e32 v3, 31, v2
	s_load_dwordx2 s[16:17], s[4:5], 0x18
	s_mov_b32 s18, exec_lo
	v_lshlrev_b64 v[3:4], 2, v[2:3]
	s_waitcnt lgkmcnt(0)
	v_add_co_u32 v0, vcc_lo, s8, v3
	v_add_co_ci_u32_e64 v1, null, s9, v4, vcc_lo
	global_load_dwordx2 v[5:6], v[0:1], off
	v_add_co_u32 v0, vcc_lo, s0, v3
	v_add_co_ci_u32_e64 v1, null, s1, v4, vcc_lo
	global_load_dword v10, v[0:1], off
	s_clause 0x1
	s_load_dword s1, s[4:5], 0x20
	s_load_dwordx2 s[6:7], s[4:5], 0x58
	s_waitcnt vmcnt(1) lgkmcnt(0)
	v_subrev_nc_u32_e32 v0, s1, v5
	v_subrev_nc_u32_e32 v9, s1, v6
	v_cmpx_lt_i32_e64 v5, v6
	s_cbranch_execz .LBB5_7
; %bb.2:
	s_clause 0x1
	s_load_dwordx4 s[12:15], s[4:5], 0x28
	s_load_dwordx2 s[8:9], s[4:5], 0x38
	v_ashrrev_i32_e32 v1, 31, v0
                                        ; implicit-def: $sgpr19
	v_lshlrev_b64 v[5:6], 2, v[0:1]
	s_waitcnt lgkmcnt(0)
	v_add_co_u32 v3, vcc_lo, s12, v3
	v_add_co_ci_u32_e64 v4, null, s13, v4, vcc_lo
	s_load_dword s12, s[4:5], 0x40
	s_mov_b32 s13, 0
	global_load_dword v7, v[3:4], off
	v_add_co_u32 v3, vcc_lo, s10, v5
	v_add_co_ci_u32_e64 v4, null, s11, v6, vcc_lo
	v_add_co_u32 v5, vcc_lo, s16, v5
	v_add_co_ci_u32_e64 v6, null, s17, v6, vcc_lo
	s_waitcnt vmcnt(0) lgkmcnt(0)
	v_subrev_nc_u32_e32 v7, s12, v7
	s_inst_prefetch 0x1
	s_branch .LBB5_4
	.p2align	6
.LBB5_3:                                ;   in Loop: Header=BB5_4 Depth=1
	s_or_b32 exec_lo, exec_lo, s20
	s_and_b32 s0, exec_lo, s19
	s_or_b32 s13, s0, s13
	s_andn2_b32 exec_lo, exec_lo, s13
	s_cbranch_execz .LBB5_6
.LBB5_4:                                ; =>This Inner Loop Header: Depth=1
	global_load_dword v1, v[3:4], off
	s_or_b32 s19, s19, exec_lo
	s_mov_b32 s20, exec_lo
	s_waitcnt vmcnt(0)
	v_subrev_nc_u32_e32 v1, s1, v1
	v_cmpx_ge_i32_e64 v2, v1
	s_cbranch_execz .LBB5_3
; %bb.5:                                ;   in Loop: Header=BB5_4 Depth=1
	global_load_dword v15, v[5:6], off
	v_ashrrev_i32_e32 v8, 31, v7
	v_add_nc_u32_e32 v0, 1, v0
	v_add_co_u32 v5, s0, v5, 4
	v_add_nc_u32_e32 v1, s12, v1
	v_lshlrev_b64 v[11:12], 2, v[7:8]
	v_add_co_ci_u32_e64 v6, null, 0, v6, s0
	v_add_nc_u32_e32 v7, 1, v7
	s_andn2_b32 s0, s19, exec_lo
	v_add_co_u32 v13, vcc_lo, s8, v11
	v_add_co_ci_u32_e64 v14, null, s9, v12, vcc_lo
	v_add_co_u32 v11, vcc_lo, s14, v11
	v_add_co_ci_u32_e64 v12, null, s15, v12, vcc_lo
	;; [unrolled: 2-line block ×3, first 2 shown]
	v_cmp_ge_i32_e32 vcc_lo, v0, v9
	global_store_dword v[11:12], v1, off
	s_and_b32 s19, vcc_lo, exec_lo
	s_or_b32 s19, s0, s19
	s_waitcnt vmcnt(0)
	global_store_dword v[13:14], v15, off
	s_branch .LBB5_3
.LBB5_6:
	s_inst_prefetch 0x2
	s_or_b32 exec_lo, exec_lo, s13
.LBB5_7:
	s_or_b32 exec_lo, exec_lo, s18
	v_cmp_lt_i32_e32 vcc_lo, v0, v9
	s_and_b32 exec_lo, exec_lo, vcc_lo
	s_cbranch_execz .LBB5_10
; %bb.8:
	s_load_dword s0, s[4:5], 0x60
	v_ashrrev_i32_e32 v1, 31, v0
	s_mov_b32 s4, 0
	v_lshlrev_b64 v[3:4], 2, v[0:1]
	v_add_co_u32 v1, vcc_lo, s10, v3
	v_add_co_ci_u32_e64 v2, null, s11, v4, vcc_lo
	v_add_co_u32 v3, vcc_lo, s16, v3
	v_add_co_ci_u32_e64 v4, null, s17, v4, vcc_lo
	s_waitcnt vmcnt(0) lgkmcnt(0)
	v_subrev_nc_u32_e32 v5, s0, v10
	s_sub_i32 s1, s0, s1
	s_inst_prefetch 0x1
	.p2align	6
.LBB5_9:                                ; =>This Inner Loop Header: Depth=1
	global_load_dword v8, v[1:2], off
	global_load_dword v12, v[3:4], off
	v_ashrrev_i32_e32 v6, 31, v5
	v_add_nc_u32_e32 v0, 1, v0
	v_add_co_u32 v1, vcc_lo, v1, 4
	v_add_co_ci_u32_e64 v2, null, 0, v2, vcc_lo
	v_lshlrev_b64 v[6:7], 2, v[5:6]
	v_add_co_u32 v3, vcc_lo, v3, 4
	v_add_co_ci_u32_e64 v4, null, 0, v4, vcc_lo
	v_cmp_ge_i32_e32 vcc_lo, v0, v9
	v_add_co_u32 v10, s0, s2, v6
	v_add_co_ci_u32_e64 v11, null, s3, v7, s0
	v_add_co_u32 v6, s0, s6, v6
	v_add_co_ci_u32_e64 v7, null, s7, v7, s0
	v_add_nc_u32_e32 v5, 1, v5
	s_or_b32 s4, vcc_lo, s4
	s_waitcnt vmcnt(1)
	v_add_nc_u32_e32 v8, s1, v8
	s_waitcnt vmcnt(0)
	global_store_dword v[6:7], v12, off
	global_store_dword v[10:11], v8, off
	s_andn2_b32 exec_lo, exec_lo, s4
	s_cbranch_execnz .LBB5_9
.LBB5_10:
	s_inst_prefetch 0x2
	s_endpgm
	.section	.rodata,"a",@progbits
	.p2align	6, 0x0
	.amdhsa_kernel _ZN9rocsparseL19csxsldu_fill_kernelILj1024EL20rocsparse_diag_type_0ELS1_1EfiiEEvT4_PKT3_PKS2_PKT2_21rocsparse_index_base_S5_PS2_PS8_SB_S5_SC_SD_SB_SD_
		.amdhsa_group_segment_fixed_size 0
		.amdhsa_private_segment_fixed_size 0
		.amdhsa_kernarg_size 368
		.amdhsa_user_sgpr_count 6
		.amdhsa_user_sgpr_private_segment_buffer 1
		.amdhsa_user_sgpr_dispatch_ptr 0
		.amdhsa_user_sgpr_queue_ptr 0
		.amdhsa_user_sgpr_kernarg_segment_ptr 1
		.amdhsa_user_sgpr_dispatch_id 0
		.amdhsa_user_sgpr_flat_scratch_init 0
		.amdhsa_user_sgpr_private_segment_size 0
		.amdhsa_wavefront_size32 1
		.amdhsa_uses_dynamic_stack 0
		.amdhsa_system_sgpr_private_segment_wavefront_offset 0
		.amdhsa_system_sgpr_workgroup_id_x 1
		.amdhsa_system_sgpr_workgroup_id_y 0
		.amdhsa_system_sgpr_workgroup_id_z 0
		.amdhsa_system_sgpr_workgroup_info 0
		.amdhsa_system_vgpr_workitem_id 0
		.amdhsa_next_free_vgpr 16
		.amdhsa_next_free_sgpr 21
		.amdhsa_reserve_vcc 1
		.amdhsa_reserve_flat_scratch 0
		.amdhsa_float_round_mode_32 0
		.amdhsa_float_round_mode_16_64 0
		.amdhsa_float_denorm_mode_32 3
		.amdhsa_float_denorm_mode_16_64 3
		.amdhsa_dx10_clamp 1
		.amdhsa_ieee_mode 1
		.amdhsa_fp16_overflow 0
		.amdhsa_workgroup_processor_mode 1
		.amdhsa_memory_ordered 1
		.amdhsa_forward_progress 1
		.amdhsa_shared_vgpr_count 0
		.amdhsa_exception_fp_ieee_invalid_op 0
		.amdhsa_exception_fp_denorm_src 0
		.amdhsa_exception_fp_ieee_div_zero 0
		.amdhsa_exception_fp_ieee_overflow 0
		.amdhsa_exception_fp_ieee_underflow 0
		.amdhsa_exception_fp_ieee_inexact 0
		.amdhsa_exception_int_div_zero 0
	.end_amdhsa_kernel
	.section	.text._ZN9rocsparseL19csxsldu_fill_kernelILj1024EL20rocsparse_diag_type_0ELS1_1EfiiEEvT4_PKT3_PKS2_PKT2_21rocsparse_index_base_S5_PS2_PS8_SB_S5_SC_SD_SB_SD_,"axG",@progbits,_ZN9rocsparseL19csxsldu_fill_kernelILj1024EL20rocsparse_diag_type_0ELS1_1EfiiEEvT4_PKT3_PKS2_PKT2_21rocsparse_index_base_S5_PS2_PS8_SB_S5_SC_SD_SB_SD_,comdat
.Lfunc_end5:
	.size	_ZN9rocsparseL19csxsldu_fill_kernelILj1024EL20rocsparse_diag_type_0ELS1_1EfiiEEvT4_PKT3_PKS2_PKT2_21rocsparse_index_base_S5_PS2_PS8_SB_S5_SC_SD_SB_SD_, .Lfunc_end5-_ZN9rocsparseL19csxsldu_fill_kernelILj1024EL20rocsparse_diag_type_0ELS1_1EfiiEEvT4_PKT3_PKS2_PKT2_21rocsparse_index_base_S5_PS2_PS8_SB_S5_SC_SD_SB_SD_
                                        ; -- End function
	.set _ZN9rocsparseL19csxsldu_fill_kernelILj1024EL20rocsparse_diag_type_0ELS1_1EfiiEEvT4_PKT3_PKS2_PKT2_21rocsparse_index_base_S5_PS2_PS8_SB_S5_SC_SD_SB_SD_.num_vgpr, 16
	.set _ZN9rocsparseL19csxsldu_fill_kernelILj1024EL20rocsparse_diag_type_0ELS1_1EfiiEEvT4_PKT3_PKS2_PKT2_21rocsparse_index_base_S5_PS2_PS8_SB_S5_SC_SD_SB_SD_.num_agpr, 0
	.set _ZN9rocsparseL19csxsldu_fill_kernelILj1024EL20rocsparse_diag_type_0ELS1_1EfiiEEvT4_PKT3_PKS2_PKT2_21rocsparse_index_base_S5_PS2_PS8_SB_S5_SC_SD_SB_SD_.numbered_sgpr, 21
	.set _ZN9rocsparseL19csxsldu_fill_kernelILj1024EL20rocsparse_diag_type_0ELS1_1EfiiEEvT4_PKT3_PKS2_PKT2_21rocsparse_index_base_S5_PS2_PS8_SB_S5_SC_SD_SB_SD_.num_named_barrier, 0
	.set _ZN9rocsparseL19csxsldu_fill_kernelILj1024EL20rocsparse_diag_type_0ELS1_1EfiiEEvT4_PKT3_PKS2_PKT2_21rocsparse_index_base_S5_PS2_PS8_SB_S5_SC_SD_SB_SD_.private_seg_size, 0
	.set _ZN9rocsparseL19csxsldu_fill_kernelILj1024EL20rocsparse_diag_type_0ELS1_1EfiiEEvT4_PKT3_PKS2_PKT2_21rocsparse_index_base_S5_PS2_PS8_SB_S5_SC_SD_SB_SD_.uses_vcc, 1
	.set _ZN9rocsparseL19csxsldu_fill_kernelILj1024EL20rocsparse_diag_type_0ELS1_1EfiiEEvT4_PKT3_PKS2_PKT2_21rocsparse_index_base_S5_PS2_PS8_SB_S5_SC_SD_SB_SD_.uses_flat_scratch, 0
	.set _ZN9rocsparseL19csxsldu_fill_kernelILj1024EL20rocsparse_diag_type_0ELS1_1EfiiEEvT4_PKT3_PKS2_PKT2_21rocsparse_index_base_S5_PS2_PS8_SB_S5_SC_SD_SB_SD_.has_dyn_sized_stack, 0
	.set _ZN9rocsparseL19csxsldu_fill_kernelILj1024EL20rocsparse_diag_type_0ELS1_1EfiiEEvT4_PKT3_PKS2_PKT2_21rocsparse_index_base_S5_PS2_PS8_SB_S5_SC_SD_SB_SD_.has_recursion, 0
	.set _ZN9rocsparseL19csxsldu_fill_kernelILj1024EL20rocsparse_diag_type_0ELS1_1EfiiEEvT4_PKT3_PKS2_PKT2_21rocsparse_index_base_S5_PS2_PS8_SB_S5_SC_SD_SB_SD_.has_indirect_call, 0
	.section	.AMDGPU.csdata,"",@progbits
; Kernel info:
; codeLenInByte = 792
; TotalNumSgprs: 23
; NumVgprs: 16
; ScratchSize: 0
; MemoryBound: 0
; FloatMode: 240
; IeeeMode: 1
; LDSByteSize: 0 bytes/workgroup (compile time only)
; SGPRBlocks: 0
; VGPRBlocks: 1
; NumSGPRsForWavesPerEU: 23
; NumVGPRsForWavesPerEU: 16
; Occupancy: 16
; WaveLimiterHint : 0
; COMPUTE_PGM_RSRC2:SCRATCH_EN: 0
; COMPUTE_PGM_RSRC2:USER_SGPR: 6
; COMPUTE_PGM_RSRC2:TRAP_HANDLER: 0
; COMPUTE_PGM_RSRC2:TGID_X_EN: 1
; COMPUTE_PGM_RSRC2:TGID_Y_EN: 0
; COMPUTE_PGM_RSRC2:TGID_Z_EN: 0
; COMPUTE_PGM_RSRC2:TIDIG_COMP_CNT: 0
	.section	.text._ZN9rocsparseL19csxsldu_fill_kernelILj1024EL20rocsparse_diag_type_1ELS1_0EdiiEEvT4_PKT3_PKS2_PKT2_21rocsparse_index_base_S5_PS2_PS8_SB_S5_SC_SD_SB_SD_,"axG",@progbits,_ZN9rocsparseL19csxsldu_fill_kernelILj1024EL20rocsparse_diag_type_1ELS1_0EdiiEEvT4_PKT3_PKS2_PKT2_21rocsparse_index_base_S5_PS2_PS8_SB_S5_SC_SD_SB_SD_,comdat
	.globl	_ZN9rocsparseL19csxsldu_fill_kernelILj1024EL20rocsparse_diag_type_1ELS1_0EdiiEEvT4_PKT3_PKS2_PKT2_21rocsparse_index_base_S5_PS2_PS8_SB_S5_SC_SD_SB_SD_ ; -- Begin function _ZN9rocsparseL19csxsldu_fill_kernelILj1024EL20rocsparse_diag_type_1ELS1_0EdiiEEvT4_PKT3_PKS2_PKT2_21rocsparse_index_base_S5_PS2_PS8_SB_S5_SC_SD_SB_SD_
	.p2align	8
	.type	_ZN9rocsparseL19csxsldu_fill_kernelILj1024EL20rocsparse_diag_type_1ELS1_0EdiiEEvT4_PKT3_PKS2_PKT2_21rocsparse_index_base_S5_PS2_PS8_SB_S5_SC_SD_SB_SD_,@function
_ZN9rocsparseL19csxsldu_fill_kernelILj1024EL20rocsparse_diag_type_1ELS1_0EdiiEEvT4_PKT3_PKS2_PKT2_21rocsparse_index_base_S5_PS2_PS8_SB_S5_SC_SD_SB_SD_: ; @_ZN9rocsparseL19csxsldu_fill_kernelILj1024EL20rocsparse_diag_type_1ELS1_0EdiiEEvT4_PKT3_PKS2_PKT2_21rocsparse_index_base_S5_PS2_PS8_SB_S5_SC_SD_SB_SD_
; %bb.0:
	s_clause 0x1
	s_load_dword s0, s[4:5], 0x7c
	s_load_dword s1, s[4:5], 0x0
	s_waitcnt lgkmcnt(0)
	s_and_b32 s0, s0, 0xffff
	v_mad_u64_u32 v[2:3], null, s6, s0, v[0:1]
	s_mov_b32 s0, exec_lo
	v_cmpx_gt_i32_e64 s1, v2
	s_cbranch_execz .LBB6_10
; %bb.1:
	s_clause 0x1
	s_load_dwordx4 s[8:11], s[4:5], 0x8
	s_load_dwordx4 s[0:3], s[4:5], 0x48
	v_ashrrev_i32_e32 v3, 31, v2
	s_load_dwordx2 s[16:17], s[4:5], 0x18
	s_mov_b32 s18, exec_lo
	v_lshlrev_b64 v[3:4], 2, v[2:3]
	s_waitcnt lgkmcnt(0)
	v_add_co_u32 v0, vcc_lo, s8, v3
	v_add_co_ci_u32_e64 v1, null, s9, v4, vcc_lo
	global_load_dwordx2 v[5:6], v[0:1], off
	v_add_co_u32 v0, vcc_lo, s0, v3
	v_add_co_ci_u32_e64 v1, null, s1, v4, vcc_lo
	global_load_dword v10, v[0:1], off
	s_clause 0x1
	s_load_dword s1, s[4:5], 0x20
	s_load_dwordx2 s[6:7], s[4:5], 0x58
	s_waitcnt vmcnt(1) lgkmcnt(0)
	v_subrev_nc_u32_e32 v0, s1, v5
	v_subrev_nc_u32_e32 v9, s1, v6
	v_cmpx_lt_i32_e64 v5, v6
	s_cbranch_execz .LBB6_7
; %bb.2:
	s_clause 0x1
	s_load_dwordx4 s[12:15], s[4:5], 0x28
	s_load_dwordx2 s[8:9], s[4:5], 0x38
	v_ashrrev_i32_e32 v1, 31, v0
                                        ; implicit-def: $sgpr19
	v_lshlrev_b64 v[5:6], 3, v[0:1]
	s_waitcnt lgkmcnt(0)
	v_add_co_u32 v3, vcc_lo, s12, v3
	v_add_co_ci_u32_e64 v4, null, s13, v4, vcc_lo
	s_load_dword s12, s[4:5], 0x40
	s_mov_b32 s13, 0
	global_load_dword v7, v[3:4], off
	v_lshlrev_b64 v[3:4], 2, v[0:1]
	v_add_co_u32 v3, vcc_lo, s10, v3
	v_add_co_ci_u32_e64 v4, null, s11, v4, vcc_lo
	v_add_co_u32 v5, vcc_lo, s16, v5
	v_add_co_ci_u32_e64 v6, null, s17, v6, vcc_lo
	s_waitcnt vmcnt(0) lgkmcnt(0)
	v_subrev_nc_u32_e32 v7, s12, v7
	s_inst_prefetch 0x1
	s_branch .LBB6_4
	.p2align	6
.LBB6_3:                                ;   in Loop: Header=BB6_4 Depth=1
	s_or_b32 exec_lo, exec_lo, s20
	s_and_b32 s0, exec_lo, s19
	s_or_b32 s13, s0, s13
	s_andn2_b32 exec_lo, exec_lo, s13
	s_cbranch_execz .LBB6_6
.LBB6_4:                                ; =>This Inner Loop Header: Depth=1
	global_load_dword v1, v[3:4], off
	s_or_b32 s19, s19, exec_lo
	s_mov_b32 s20, exec_lo
	s_waitcnt vmcnt(0)
	v_subrev_nc_u32_e32 v1, s1, v1
	v_cmpx_gt_i32_e64 v2, v1
	s_cbranch_execz .LBB6_3
; %bb.5:                                ;   in Loop: Header=BB6_4 Depth=1
	global_load_dwordx2 v[11:12], v[5:6], off
	v_ashrrev_i32_e32 v8, 31, v7
	v_add_nc_u32_e32 v0, 1, v0
	v_add_co_u32 v5, s0, v5, 8
	v_add_nc_u32_e32 v1, s12, v1
	v_lshlrev_b64 v[13:14], 3, v[7:8]
	v_lshlrev_b64 v[15:16], 2, v[7:8]
	v_add_co_ci_u32_e64 v6, null, 0, v6, s0
	v_add_nc_u32_e32 v7, 1, v7
	s_andn2_b32 s0, s19, exec_lo
	v_add_co_u32 v13, vcc_lo, s8, v13
	v_add_co_ci_u32_e64 v14, null, s9, v14, vcc_lo
	v_add_co_u32 v15, vcc_lo, s14, v15
	v_add_co_ci_u32_e64 v16, null, s15, v16, vcc_lo
	v_add_co_u32 v3, vcc_lo, v3, 4
	v_add_co_ci_u32_e64 v4, null, 0, v4, vcc_lo
	v_cmp_ge_i32_e32 vcc_lo, v0, v9
	global_store_dword v[15:16], v1, off
	s_and_b32 s19, vcc_lo, exec_lo
	s_or_b32 s19, s0, s19
	s_waitcnt vmcnt(0)
	global_store_dwordx2 v[13:14], v[11:12], off
	s_branch .LBB6_3
.LBB6_6:
	s_inst_prefetch 0x2
	s_or_b32 exec_lo, exec_lo, s13
.LBB6_7:
	s_or_b32 exec_lo, exec_lo, s18
	v_cmp_lt_i32_e32 vcc_lo, v0, v9
	s_and_b32 exec_lo, exec_lo, vcc_lo
	s_cbranch_execz .LBB6_10
; %bb.8:
	s_load_dword s0, s[4:5], 0x60
	v_ashrrev_i32_e32 v1, 31, v0
	s_mov_b32 s4, 0
	v_lshlrev_b64 v[2:3], 2, v[0:1]
	v_lshlrev_b64 v[4:5], 3, v[0:1]
	v_add_co_u32 v1, vcc_lo, s10, v2
	v_add_co_ci_u32_e64 v2, null, s11, v3, vcc_lo
	v_add_co_u32 v3, vcc_lo, s16, v4
	v_add_co_ci_u32_e64 v4, null, s17, v5, vcc_lo
	s_waitcnt vmcnt(0) lgkmcnt(0)
	v_subrev_nc_u32_e32 v5, s0, v10
	s_sub_i32 s1, s0, s1
	s_inst_prefetch 0x1
	.p2align	6
.LBB6_9:                                ; =>This Inner Loop Header: Depth=1
	global_load_dword v14, v[1:2], off
	global_load_dwordx2 v[7:8], v[3:4], off
	v_ashrrev_i32_e32 v6, 31, v5
	v_add_nc_u32_e32 v0, 1, v0
	v_add_co_u32 v1, vcc_lo, v1, 4
	v_add_co_ci_u32_e64 v2, null, 0, v2, vcc_lo
	v_lshlrev_b64 v[10:11], 2, v[5:6]
	v_lshlrev_b64 v[12:13], 3, v[5:6]
	v_add_co_u32 v3, vcc_lo, v3, 8
	v_add_co_ci_u32_e64 v4, null, 0, v4, vcc_lo
	v_add_co_u32 v10, s0, s2, v10
	v_cmp_ge_i32_e32 vcc_lo, v0, v9
	v_add_co_ci_u32_e64 v11, null, s3, v11, s0
	v_add_co_u32 v12, s0, s6, v12
	v_add_co_ci_u32_e64 v13, null, s7, v13, s0
	v_add_nc_u32_e32 v5, 1, v5
	s_or_b32 s4, vcc_lo, s4
	s_waitcnt vmcnt(1)
	v_add_nc_u32_e32 v6, s1, v14
	s_waitcnt vmcnt(0)
	global_store_dwordx2 v[12:13], v[7:8], off
	global_store_dword v[10:11], v6, off
	s_andn2_b32 exec_lo, exec_lo, s4
	s_cbranch_execnz .LBB6_9
.LBB6_10:
	s_inst_prefetch 0x2
	s_endpgm
	.section	.rodata,"a",@progbits
	.p2align	6, 0x0
	.amdhsa_kernel _ZN9rocsparseL19csxsldu_fill_kernelILj1024EL20rocsparse_diag_type_1ELS1_0EdiiEEvT4_PKT3_PKS2_PKT2_21rocsparse_index_base_S5_PS2_PS8_SB_S5_SC_SD_SB_SD_
		.amdhsa_group_segment_fixed_size 0
		.amdhsa_private_segment_fixed_size 0
		.amdhsa_kernarg_size 368
		.amdhsa_user_sgpr_count 6
		.amdhsa_user_sgpr_private_segment_buffer 1
		.amdhsa_user_sgpr_dispatch_ptr 0
		.amdhsa_user_sgpr_queue_ptr 0
		.amdhsa_user_sgpr_kernarg_segment_ptr 1
		.amdhsa_user_sgpr_dispatch_id 0
		.amdhsa_user_sgpr_flat_scratch_init 0
		.amdhsa_user_sgpr_private_segment_size 0
		.amdhsa_wavefront_size32 1
		.amdhsa_uses_dynamic_stack 0
		.amdhsa_system_sgpr_private_segment_wavefront_offset 0
		.amdhsa_system_sgpr_workgroup_id_x 1
		.amdhsa_system_sgpr_workgroup_id_y 0
		.amdhsa_system_sgpr_workgroup_id_z 0
		.amdhsa_system_sgpr_workgroup_info 0
		.amdhsa_system_vgpr_workitem_id 0
		.amdhsa_next_free_vgpr 17
		.amdhsa_next_free_sgpr 21
		.amdhsa_reserve_vcc 1
		.amdhsa_reserve_flat_scratch 0
		.amdhsa_float_round_mode_32 0
		.amdhsa_float_round_mode_16_64 0
		.amdhsa_float_denorm_mode_32 3
		.amdhsa_float_denorm_mode_16_64 3
		.amdhsa_dx10_clamp 1
		.amdhsa_ieee_mode 1
		.amdhsa_fp16_overflow 0
		.amdhsa_workgroup_processor_mode 1
		.amdhsa_memory_ordered 1
		.amdhsa_forward_progress 1
		.amdhsa_shared_vgpr_count 0
		.amdhsa_exception_fp_ieee_invalid_op 0
		.amdhsa_exception_fp_denorm_src 0
		.amdhsa_exception_fp_ieee_div_zero 0
		.amdhsa_exception_fp_ieee_overflow 0
		.amdhsa_exception_fp_ieee_underflow 0
		.amdhsa_exception_fp_ieee_inexact 0
		.amdhsa_exception_int_div_zero 0
	.end_amdhsa_kernel
	.section	.text._ZN9rocsparseL19csxsldu_fill_kernelILj1024EL20rocsparse_diag_type_1ELS1_0EdiiEEvT4_PKT3_PKS2_PKT2_21rocsparse_index_base_S5_PS2_PS8_SB_S5_SC_SD_SB_SD_,"axG",@progbits,_ZN9rocsparseL19csxsldu_fill_kernelILj1024EL20rocsparse_diag_type_1ELS1_0EdiiEEvT4_PKT3_PKS2_PKT2_21rocsparse_index_base_S5_PS2_PS8_SB_S5_SC_SD_SB_SD_,comdat
.Lfunc_end6:
	.size	_ZN9rocsparseL19csxsldu_fill_kernelILj1024EL20rocsparse_diag_type_1ELS1_0EdiiEEvT4_PKT3_PKS2_PKT2_21rocsparse_index_base_S5_PS2_PS8_SB_S5_SC_SD_SB_SD_, .Lfunc_end6-_ZN9rocsparseL19csxsldu_fill_kernelILj1024EL20rocsparse_diag_type_1ELS1_0EdiiEEvT4_PKT3_PKS2_PKT2_21rocsparse_index_base_S5_PS2_PS8_SB_S5_SC_SD_SB_SD_
                                        ; -- End function
	.set _ZN9rocsparseL19csxsldu_fill_kernelILj1024EL20rocsparse_diag_type_1ELS1_0EdiiEEvT4_PKT3_PKS2_PKT2_21rocsparse_index_base_S5_PS2_PS8_SB_S5_SC_SD_SB_SD_.num_vgpr, 17
	.set _ZN9rocsparseL19csxsldu_fill_kernelILj1024EL20rocsparse_diag_type_1ELS1_0EdiiEEvT4_PKT3_PKS2_PKT2_21rocsparse_index_base_S5_PS2_PS8_SB_S5_SC_SD_SB_SD_.num_agpr, 0
	.set _ZN9rocsparseL19csxsldu_fill_kernelILj1024EL20rocsparse_diag_type_1ELS1_0EdiiEEvT4_PKT3_PKS2_PKT2_21rocsparse_index_base_S5_PS2_PS8_SB_S5_SC_SD_SB_SD_.numbered_sgpr, 21
	.set _ZN9rocsparseL19csxsldu_fill_kernelILj1024EL20rocsparse_diag_type_1ELS1_0EdiiEEvT4_PKT3_PKS2_PKT2_21rocsparse_index_base_S5_PS2_PS8_SB_S5_SC_SD_SB_SD_.num_named_barrier, 0
	.set _ZN9rocsparseL19csxsldu_fill_kernelILj1024EL20rocsparse_diag_type_1ELS1_0EdiiEEvT4_PKT3_PKS2_PKT2_21rocsparse_index_base_S5_PS2_PS8_SB_S5_SC_SD_SB_SD_.private_seg_size, 0
	.set _ZN9rocsparseL19csxsldu_fill_kernelILj1024EL20rocsparse_diag_type_1ELS1_0EdiiEEvT4_PKT3_PKS2_PKT2_21rocsparse_index_base_S5_PS2_PS8_SB_S5_SC_SD_SB_SD_.uses_vcc, 1
	.set _ZN9rocsparseL19csxsldu_fill_kernelILj1024EL20rocsparse_diag_type_1ELS1_0EdiiEEvT4_PKT3_PKS2_PKT2_21rocsparse_index_base_S5_PS2_PS8_SB_S5_SC_SD_SB_SD_.uses_flat_scratch, 0
	.set _ZN9rocsparseL19csxsldu_fill_kernelILj1024EL20rocsparse_diag_type_1ELS1_0EdiiEEvT4_PKT3_PKS2_PKT2_21rocsparse_index_base_S5_PS2_PS8_SB_S5_SC_SD_SB_SD_.has_dyn_sized_stack, 0
	.set _ZN9rocsparseL19csxsldu_fill_kernelILj1024EL20rocsparse_diag_type_1ELS1_0EdiiEEvT4_PKT3_PKS2_PKT2_21rocsparse_index_base_S5_PS2_PS8_SB_S5_SC_SD_SB_SD_.has_recursion, 0
	.set _ZN9rocsparseL19csxsldu_fill_kernelILj1024EL20rocsparse_diag_type_1ELS1_0EdiiEEvT4_PKT3_PKS2_PKT2_21rocsparse_index_base_S5_PS2_PS8_SB_S5_SC_SD_SB_SD_.has_indirect_call, 0
	.section	.AMDGPU.csdata,"",@progbits
; Kernel info:
; codeLenInByte = 864
; TotalNumSgprs: 23
; NumVgprs: 17
; ScratchSize: 0
; MemoryBound: 0
; FloatMode: 240
; IeeeMode: 1
; LDSByteSize: 0 bytes/workgroup (compile time only)
; SGPRBlocks: 0
; VGPRBlocks: 2
; NumSGPRsForWavesPerEU: 23
; NumVGPRsForWavesPerEU: 17
; Occupancy: 16
; WaveLimiterHint : 0
; COMPUTE_PGM_RSRC2:SCRATCH_EN: 0
; COMPUTE_PGM_RSRC2:USER_SGPR: 6
; COMPUTE_PGM_RSRC2:TRAP_HANDLER: 0
; COMPUTE_PGM_RSRC2:TGID_X_EN: 1
; COMPUTE_PGM_RSRC2:TGID_Y_EN: 0
; COMPUTE_PGM_RSRC2:TGID_Z_EN: 0
; COMPUTE_PGM_RSRC2:TIDIG_COMP_CNT: 0
	.section	.text._ZN9rocsparseL19csxsldu_fill_kernelILj1024EL20rocsparse_diag_type_1ELS1_1EdiiEEvT4_PKT3_PKS2_PKT2_21rocsparse_index_base_S5_PS2_PS8_SB_S5_SC_SD_SB_SD_,"axG",@progbits,_ZN9rocsparseL19csxsldu_fill_kernelILj1024EL20rocsparse_diag_type_1ELS1_1EdiiEEvT4_PKT3_PKS2_PKT2_21rocsparse_index_base_S5_PS2_PS8_SB_S5_SC_SD_SB_SD_,comdat
	.globl	_ZN9rocsparseL19csxsldu_fill_kernelILj1024EL20rocsparse_diag_type_1ELS1_1EdiiEEvT4_PKT3_PKS2_PKT2_21rocsparse_index_base_S5_PS2_PS8_SB_S5_SC_SD_SB_SD_ ; -- Begin function _ZN9rocsparseL19csxsldu_fill_kernelILj1024EL20rocsparse_diag_type_1ELS1_1EdiiEEvT4_PKT3_PKS2_PKT2_21rocsparse_index_base_S5_PS2_PS8_SB_S5_SC_SD_SB_SD_
	.p2align	8
	.type	_ZN9rocsparseL19csxsldu_fill_kernelILj1024EL20rocsparse_diag_type_1ELS1_1EdiiEEvT4_PKT3_PKS2_PKT2_21rocsparse_index_base_S5_PS2_PS8_SB_S5_SC_SD_SB_SD_,@function
_ZN9rocsparseL19csxsldu_fill_kernelILj1024EL20rocsparse_diag_type_1ELS1_1EdiiEEvT4_PKT3_PKS2_PKT2_21rocsparse_index_base_S5_PS2_PS8_SB_S5_SC_SD_SB_SD_: ; @_ZN9rocsparseL19csxsldu_fill_kernelILj1024EL20rocsparse_diag_type_1ELS1_1EdiiEEvT4_PKT3_PKS2_PKT2_21rocsparse_index_base_S5_PS2_PS8_SB_S5_SC_SD_SB_SD_
; %bb.0:
	s_clause 0x1
	s_load_dword s0, s[4:5], 0x7c
	s_load_dword s1, s[4:5], 0x0
	s_waitcnt lgkmcnt(0)
	s_and_b32 s0, s0, 0xffff
	v_mad_u64_u32 v[2:3], null, s6, s0, v[0:1]
	s_mov_b32 s0, exec_lo
	v_cmpx_gt_i32_e64 s1, v2
	s_cbranch_execz .LBB7_14
; %bb.1:
	s_clause 0x1
	s_load_dwordx4 s[8:11], s[4:5], 0x8
	s_load_dwordx4 s[0:3], s[4:5], 0x48
	v_ashrrev_i32_e32 v3, 31, v2
	s_load_dwordx2 s[16:17], s[4:5], 0x18
	s_mov_b32 s18, exec_lo
	v_lshlrev_b64 v[4:5], 2, v[2:3]
	s_waitcnt lgkmcnt(0)
	v_add_co_u32 v0, vcc_lo, s8, v4
	v_add_co_ci_u32_e64 v1, null, s9, v5, vcc_lo
	global_load_dwordx2 v[6:7], v[0:1], off
	v_add_co_u32 v0, vcc_lo, s0, v4
	v_add_co_ci_u32_e64 v1, null, s1, v5, vcc_lo
	global_load_dword v13, v[0:1], off
	s_clause 0x1
	s_load_dword s1, s[4:5], 0x20
	s_load_dwordx2 s[6:7], s[4:5], 0x58
	s_waitcnt vmcnt(1) lgkmcnt(0)
	v_subrev_nc_u32_e32 v0, s1, v6
	v_subrev_nc_u32_e32 v12, s1, v7
	v_cmpx_lt_i32_e64 v6, v7
	s_cbranch_execz .LBB7_11
; %bb.2:
	s_clause 0x1
	s_load_dwordx4 s[12:15], s[4:5], 0x28
	s_load_dwordx2 s[8:9], s[4:5], 0x38
	v_ashrrev_i32_e32 v1, 31, v0
	s_mov_b32 s19, 0
                                        ; implicit-def: $sgpr21
                                        ; implicit-def: $sgpr20
	v_lshlrev_b64 v[8:9], 3, v[0:1]
	s_waitcnt lgkmcnt(0)
	v_add_co_u32 v4, vcc_lo, s12, v4
	v_add_co_ci_u32_e64 v5, null, s13, v5, vcc_lo
	s_load_dword s12, s[4:5], 0x40
                                        ; implicit-def: $sgpr13
	global_load_dword v10, v[4:5], off
	v_lshlrev_b64 v[4:5], 2, v[0:1]
	v_add_co_u32 v6, vcc_lo, s10, v4
	v_add_co_ci_u32_e64 v7, null, s11, v5, vcc_lo
	v_add_co_u32 v8, vcc_lo, s16, v8
	v_add_co_ci_u32_e64 v9, null, s17, v9, vcc_lo
	s_waitcnt vmcnt(0) lgkmcnt(0)
	v_subrev_nc_u32_e32 v10, s12, v10
	s_branch .LBB7_4
.LBB7_3:                                ;   in Loop: Header=BB7_4 Depth=1
	s_or_b32 exec_lo, exec_lo, s22
	s_and_b32 s0, exec_lo, s21
	s_or_b32 s19, s0, s19
	s_andn2_b32 s0, s13, exec_lo
	s_and_b32 s13, s20, exec_lo
	s_or_b32 s13, s0, s13
	s_andn2_b32 exec_lo, exec_lo, s19
	s_cbranch_execz .LBB7_6
.LBB7_4:                                ; =>This Inner Loop Header: Depth=1
	global_load_dword v4, v[6:7], off
	s_or_b32 s20, s20, exec_lo
	s_or_b32 s21, s21, exec_lo
	s_mov_b32 s22, exec_lo
	s_waitcnt vmcnt(0)
	v_subrev_nc_u32_e32 v14, s1, v4
	v_mov_b32_e32 v5, v1
	v_mov_b32_e32 v4, v0
                                        ; implicit-def: $vgpr0_vgpr1
	v_cmpx_gt_i32_e64 v2, v14
	s_cbranch_execz .LBB7_3
; %bb.5:                                ;   in Loop: Header=BB7_4 Depth=1
	global_load_dwordx2 v[15:16], v[8:9], off
	v_ashrrev_i32_e32 v11, 31, v10
	v_add_co_u32 v8, s0, v8, 8
	v_add_co_ci_u32_e64 v9, null, 0, v9, s0
	v_lshlrev_b64 v[0:1], 2, v[10:11]
	v_lshlrev_b64 v[17:18], 3, v[10:11]
	v_add_nc_u32_e32 v11, s12, v14
	v_add_nc_u32_e32 v10, 1, v10
	s_andn2_b32 s0, s21, exec_lo
	s_andn2_b32 s20, s20, exec_lo
	v_add_co_u32 v0, vcc_lo, s14, v0
	v_add_co_ci_u32_e64 v1, null, s15, v1, vcc_lo
	v_add_co_u32 v17, vcc_lo, s8, v17
	v_add_co_ci_u32_e64 v18, null, s9, v18, vcc_lo
	global_store_dword v[0:1], v11, off
	v_add_co_u32 v0, vcc_lo, v4, 1
	v_add_co_ci_u32_e64 v1, null, 0, v5, vcc_lo
	v_add_co_u32 v6, vcc_lo, v6, 4
	v_add_co_ci_u32_e64 v7, null, 0, v7, vcc_lo
	v_cmp_ge_i32_e32 vcc_lo, v0, v12
	s_and_b32 s21, vcc_lo, exec_lo
	s_or_b32 s21, s0, s21
	s_waitcnt vmcnt(0)
	global_store_dwordx2 v[17:18], v[15:16], off
	s_branch .LBB7_3
.LBB7_6:
	s_or_b32 exec_lo, exec_lo, s19
	s_and_saveexec_b32 s0, s13
	s_xor_b32 s0, exec_lo, s0
	s_cbranch_execz .LBB7_10
; %bb.7:
	s_mov_b32 s8, exec_lo
	v_cmpx_eq_u32_e64 v14, v2
	s_cbranch_execz .LBB7_9
; %bb.8:
	v_lshlrev_b64 v[0:1], 3, v[4:5]
	s_load_dwordx2 s[12:13], s[4:5], 0x68
	v_lshlrev_b64 v[2:3], 3, v[2:3]
	v_add_nc_u32_e32 v4, 1, v4
	v_add_co_u32 v0, vcc_lo, s16, v0
	v_add_co_ci_u32_e64 v1, null, s17, v1, vcc_lo
	global_load_dwordx2 v[0:1], v[0:1], off
	s_waitcnt lgkmcnt(0)
	v_add_co_u32 v2, vcc_lo, s12, v2
	v_add_co_ci_u32_e64 v3, null, s13, v3, vcc_lo
	s_waitcnt vmcnt(0)
	global_store_dwordx2 v[2:3], v[0:1], off
.LBB7_9:
	s_or_b32 exec_lo, exec_lo, s8
	v_mov_b32_e32 v0, v4
.LBB7_10:
	s_or_b32 exec_lo, exec_lo, s0
.LBB7_11:
	s_or_b32 exec_lo, exec_lo, s18
	v_cmp_lt_i32_e32 vcc_lo, v0, v12
	s_and_b32 exec_lo, exec_lo, vcc_lo
	s_cbranch_execz .LBB7_14
; %bb.12:
	s_load_dword s0, s[4:5], 0x60
	v_ashrrev_i32_e32 v1, 31, v0
	s_mov_b32 s4, 0
	v_lshlrev_b64 v[2:3], 2, v[0:1]
	v_lshlrev_b64 v[4:5], 3, v[0:1]
	v_add_co_u32 v1, vcc_lo, s10, v2
	v_add_co_ci_u32_e64 v2, null, s11, v3, vcc_lo
	v_add_co_u32 v3, vcc_lo, s16, v4
	v_add_co_ci_u32_e64 v4, null, s17, v5, vcc_lo
	s_waitcnt vmcnt(0) lgkmcnt(0)
	v_subrev_nc_u32_e32 v5, s0, v13
	s_sub_i32 s1, s0, s1
	s_inst_prefetch 0x1
	.p2align	6
.LBB7_13:                               ; =>This Inner Loop Header: Depth=1
	global_load_dword v11, v[1:2], off
	global_load_dwordx2 v[7:8], v[3:4], off
	v_ashrrev_i32_e32 v6, 31, v5
	v_add_nc_u32_e32 v0, 1, v0
	v_add_co_u32 v1, vcc_lo, v1, 4
	v_add_co_ci_u32_e64 v2, null, 0, v2, vcc_lo
	v_lshlrev_b64 v[9:10], 2, v[5:6]
	v_lshlrev_b64 v[13:14], 3, v[5:6]
	v_add_co_u32 v3, vcc_lo, v3, 8
	v_add_co_ci_u32_e64 v4, null, 0, v4, vcc_lo
	v_add_co_u32 v9, s0, s2, v9
	v_cmp_ge_i32_e32 vcc_lo, v0, v12
	v_add_co_ci_u32_e64 v10, null, s3, v10, s0
	v_add_co_u32 v13, s0, s6, v13
	v_add_co_ci_u32_e64 v14, null, s7, v14, s0
	v_add_nc_u32_e32 v5, 1, v5
	s_or_b32 s4, vcc_lo, s4
	s_waitcnt vmcnt(1)
	v_add_nc_u32_e32 v6, s1, v11
	s_waitcnt vmcnt(0)
	global_store_dwordx2 v[13:14], v[7:8], off
	global_store_dword v[9:10], v6, off
	s_andn2_b32 exec_lo, exec_lo, s4
	s_cbranch_execnz .LBB7_13
.LBB7_14:
	s_inst_prefetch 0x2
	s_endpgm
	.section	.rodata,"a",@progbits
	.p2align	6, 0x0
	.amdhsa_kernel _ZN9rocsparseL19csxsldu_fill_kernelILj1024EL20rocsparse_diag_type_1ELS1_1EdiiEEvT4_PKT3_PKS2_PKT2_21rocsparse_index_base_S5_PS2_PS8_SB_S5_SC_SD_SB_SD_
		.amdhsa_group_segment_fixed_size 0
		.amdhsa_private_segment_fixed_size 0
		.amdhsa_kernarg_size 368
		.amdhsa_user_sgpr_count 6
		.amdhsa_user_sgpr_private_segment_buffer 1
		.amdhsa_user_sgpr_dispatch_ptr 0
		.amdhsa_user_sgpr_queue_ptr 0
		.amdhsa_user_sgpr_kernarg_segment_ptr 1
		.amdhsa_user_sgpr_dispatch_id 0
		.amdhsa_user_sgpr_flat_scratch_init 0
		.amdhsa_user_sgpr_private_segment_size 0
		.amdhsa_wavefront_size32 1
		.amdhsa_uses_dynamic_stack 0
		.amdhsa_system_sgpr_private_segment_wavefront_offset 0
		.amdhsa_system_sgpr_workgroup_id_x 1
		.amdhsa_system_sgpr_workgroup_id_y 0
		.amdhsa_system_sgpr_workgroup_id_z 0
		.amdhsa_system_sgpr_workgroup_info 0
		.amdhsa_system_vgpr_workitem_id 0
		.amdhsa_next_free_vgpr 19
		.amdhsa_next_free_sgpr 23
		.amdhsa_reserve_vcc 1
		.amdhsa_reserve_flat_scratch 0
		.amdhsa_float_round_mode_32 0
		.amdhsa_float_round_mode_16_64 0
		.amdhsa_float_denorm_mode_32 3
		.amdhsa_float_denorm_mode_16_64 3
		.amdhsa_dx10_clamp 1
		.amdhsa_ieee_mode 1
		.amdhsa_fp16_overflow 0
		.amdhsa_workgroup_processor_mode 1
		.amdhsa_memory_ordered 1
		.amdhsa_forward_progress 1
		.amdhsa_shared_vgpr_count 0
		.amdhsa_exception_fp_ieee_invalid_op 0
		.amdhsa_exception_fp_denorm_src 0
		.amdhsa_exception_fp_ieee_div_zero 0
		.amdhsa_exception_fp_ieee_overflow 0
		.amdhsa_exception_fp_ieee_underflow 0
		.amdhsa_exception_fp_ieee_inexact 0
		.amdhsa_exception_int_div_zero 0
	.end_amdhsa_kernel
	.section	.text._ZN9rocsparseL19csxsldu_fill_kernelILj1024EL20rocsparse_diag_type_1ELS1_1EdiiEEvT4_PKT3_PKS2_PKT2_21rocsparse_index_base_S5_PS2_PS8_SB_S5_SC_SD_SB_SD_,"axG",@progbits,_ZN9rocsparseL19csxsldu_fill_kernelILj1024EL20rocsparse_diag_type_1ELS1_1EdiiEEvT4_PKT3_PKS2_PKT2_21rocsparse_index_base_S5_PS2_PS8_SB_S5_SC_SD_SB_SD_,comdat
.Lfunc_end7:
	.size	_ZN9rocsparseL19csxsldu_fill_kernelILj1024EL20rocsparse_diag_type_1ELS1_1EdiiEEvT4_PKT3_PKS2_PKT2_21rocsparse_index_base_S5_PS2_PS8_SB_S5_SC_SD_SB_SD_, .Lfunc_end7-_ZN9rocsparseL19csxsldu_fill_kernelILj1024EL20rocsparse_diag_type_1ELS1_1EdiiEEvT4_PKT3_PKS2_PKT2_21rocsparse_index_base_S5_PS2_PS8_SB_S5_SC_SD_SB_SD_
                                        ; -- End function
	.set _ZN9rocsparseL19csxsldu_fill_kernelILj1024EL20rocsparse_diag_type_1ELS1_1EdiiEEvT4_PKT3_PKS2_PKT2_21rocsparse_index_base_S5_PS2_PS8_SB_S5_SC_SD_SB_SD_.num_vgpr, 19
	.set _ZN9rocsparseL19csxsldu_fill_kernelILj1024EL20rocsparse_diag_type_1ELS1_1EdiiEEvT4_PKT3_PKS2_PKT2_21rocsparse_index_base_S5_PS2_PS8_SB_S5_SC_SD_SB_SD_.num_agpr, 0
	.set _ZN9rocsparseL19csxsldu_fill_kernelILj1024EL20rocsparse_diag_type_1ELS1_1EdiiEEvT4_PKT3_PKS2_PKT2_21rocsparse_index_base_S5_PS2_PS8_SB_S5_SC_SD_SB_SD_.numbered_sgpr, 23
	.set _ZN9rocsparseL19csxsldu_fill_kernelILj1024EL20rocsparse_diag_type_1ELS1_1EdiiEEvT4_PKT3_PKS2_PKT2_21rocsparse_index_base_S5_PS2_PS8_SB_S5_SC_SD_SB_SD_.num_named_barrier, 0
	.set _ZN9rocsparseL19csxsldu_fill_kernelILj1024EL20rocsparse_diag_type_1ELS1_1EdiiEEvT4_PKT3_PKS2_PKT2_21rocsparse_index_base_S5_PS2_PS8_SB_S5_SC_SD_SB_SD_.private_seg_size, 0
	.set _ZN9rocsparseL19csxsldu_fill_kernelILj1024EL20rocsparse_diag_type_1ELS1_1EdiiEEvT4_PKT3_PKS2_PKT2_21rocsparse_index_base_S5_PS2_PS8_SB_S5_SC_SD_SB_SD_.uses_vcc, 1
	.set _ZN9rocsparseL19csxsldu_fill_kernelILj1024EL20rocsparse_diag_type_1ELS1_1EdiiEEvT4_PKT3_PKS2_PKT2_21rocsparse_index_base_S5_PS2_PS8_SB_S5_SC_SD_SB_SD_.uses_flat_scratch, 0
	.set _ZN9rocsparseL19csxsldu_fill_kernelILj1024EL20rocsparse_diag_type_1ELS1_1EdiiEEvT4_PKT3_PKS2_PKT2_21rocsparse_index_base_S5_PS2_PS8_SB_S5_SC_SD_SB_SD_.has_dyn_sized_stack, 0
	.set _ZN9rocsparseL19csxsldu_fill_kernelILj1024EL20rocsparse_diag_type_1ELS1_1EdiiEEvT4_PKT3_PKS2_PKT2_21rocsparse_index_base_S5_PS2_PS8_SB_S5_SC_SD_SB_SD_.has_recursion, 0
	.set _ZN9rocsparseL19csxsldu_fill_kernelILj1024EL20rocsparse_diag_type_1ELS1_1EdiiEEvT4_PKT3_PKS2_PKT2_21rocsparse_index_base_S5_PS2_PS8_SB_S5_SC_SD_SB_SD_.has_indirect_call, 0
	.section	.AMDGPU.csdata,"",@progbits
; Kernel info:
; codeLenInByte = 992
; TotalNumSgprs: 25
; NumVgprs: 19
; ScratchSize: 0
; MemoryBound: 0
; FloatMode: 240
; IeeeMode: 1
; LDSByteSize: 0 bytes/workgroup (compile time only)
; SGPRBlocks: 0
; VGPRBlocks: 2
; NumSGPRsForWavesPerEU: 25
; NumVGPRsForWavesPerEU: 19
; Occupancy: 16
; WaveLimiterHint : 0
; COMPUTE_PGM_RSRC2:SCRATCH_EN: 0
; COMPUTE_PGM_RSRC2:USER_SGPR: 6
; COMPUTE_PGM_RSRC2:TRAP_HANDLER: 0
; COMPUTE_PGM_RSRC2:TGID_X_EN: 1
; COMPUTE_PGM_RSRC2:TGID_Y_EN: 0
; COMPUTE_PGM_RSRC2:TGID_Z_EN: 0
; COMPUTE_PGM_RSRC2:TIDIG_COMP_CNT: 0
	.section	.text._ZN9rocsparseL19csxsldu_fill_kernelILj1024EL20rocsparse_diag_type_0ELS1_1EdiiEEvT4_PKT3_PKS2_PKT2_21rocsparse_index_base_S5_PS2_PS8_SB_S5_SC_SD_SB_SD_,"axG",@progbits,_ZN9rocsparseL19csxsldu_fill_kernelILj1024EL20rocsparse_diag_type_0ELS1_1EdiiEEvT4_PKT3_PKS2_PKT2_21rocsparse_index_base_S5_PS2_PS8_SB_S5_SC_SD_SB_SD_,comdat
	.globl	_ZN9rocsparseL19csxsldu_fill_kernelILj1024EL20rocsparse_diag_type_0ELS1_1EdiiEEvT4_PKT3_PKS2_PKT2_21rocsparse_index_base_S5_PS2_PS8_SB_S5_SC_SD_SB_SD_ ; -- Begin function _ZN9rocsparseL19csxsldu_fill_kernelILj1024EL20rocsparse_diag_type_0ELS1_1EdiiEEvT4_PKT3_PKS2_PKT2_21rocsparse_index_base_S5_PS2_PS8_SB_S5_SC_SD_SB_SD_
	.p2align	8
	.type	_ZN9rocsparseL19csxsldu_fill_kernelILj1024EL20rocsparse_diag_type_0ELS1_1EdiiEEvT4_PKT3_PKS2_PKT2_21rocsparse_index_base_S5_PS2_PS8_SB_S5_SC_SD_SB_SD_,@function
_ZN9rocsparseL19csxsldu_fill_kernelILj1024EL20rocsparse_diag_type_0ELS1_1EdiiEEvT4_PKT3_PKS2_PKT2_21rocsparse_index_base_S5_PS2_PS8_SB_S5_SC_SD_SB_SD_: ; @_ZN9rocsparseL19csxsldu_fill_kernelILj1024EL20rocsparse_diag_type_0ELS1_1EdiiEEvT4_PKT3_PKS2_PKT2_21rocsparse_index_base_S5_PS2_PS8_SB_S5_SC_SD_SB_SD_
; %bb.0:
	s_clause 0x1
	s_load_dword s0, s[4:5], 0x7c
	s_load_dword s1, s[4:5], 0x0
	s_waitcnt lgkmcnt(0)
	s_and_b32 s0, s0, 0xffff
	v_mad_u64_u32 v[2:3], null, s6, s0, v[0:1]
	s_mov_b32 s0, exec_lo
	v_cmpx_gt_i32_e64 s1, v2
	s_cbranch_execz .LBB8_10
; %bb.1:
	s_clause 0x1
	s_load_dwordx4 s[8:11], s[4:5], 0x8
	s_load_dwordx4 s[0:3], s[4:5], 0x48
	v_ashrrev_i32_e32 v3, 31, v2
	s_load_dwordx2 s[16:17], s[4:5], 0x18
	s_mov_b32 s18, exec_lo
	v_lshlrev_b64 v[3:4], 2, v[2:3]
	s_waitcnt lgkmcnt(0)
	v_add_co_u32 v0, vcc_lo, s8, v3
	v_add_co_ci_u32_e64 v1, null, s9, v4, vcc_lo
	global_load_dwordx2 v[5:6], v[0:1], off
	v_add_co_u32 v0, vcc_lo, s0, v3
	v_add_co_ci_u32_e64 v1, null, s1, v4, vcc_lo
	global_load_dword v10, v[0:1], off
	s_clause 0x1
	s_load_dword s1, s[4:5], 0x20
	s_load_dwordx2 s[6:7], s[4:5], 0x58
	s_waitcnt vmcnt(1) lgkmcnt(0)
	v_subrev_nc_u32_e32 v0, s1, v5
	v_subrev_nc_u32_e32 v9, s1, v6
	v_cmpx_lt_i32_e64 v5, v6
	s_cbranch_execz .LBB8_7
; %bb.2:
	s_clause 0x1
	s_load_dwordx4 s[12:15], s[4:5], 0x28
	s_load_dwordx2 s[8:9], s[4:5], 0x38
	v_ashrrev_i32_e32 v1, 31, v0
                                        ; implicit-def: $sgpr19
	v_lshlrev_b64 v[5:6], 3, v[0:1]
	s_waitcnt lgkmcnt(0)
	v_add_co_u32 v3, vcc_lo, s12, v3
	v_add_co_ci_u32_e64 v4, null, s13, v4, vcc_lo
	s_load_dword s12, s[4:5], 0x40
	s_mov_b32 s13, 0
	global_load_dword v7, v[3:4], off
	v_lshlrev_b64 v[3:4], 2, v[0:1]
	v_add_co_u32 v3, vcc_lo, s10, v3
	v_add_co_ci_u32_e64 v4, null, s11, v4, vcc_lo
	v_add_co_u32 v5, vcc_lo, s16, v5
	v_add_co_ci_u32_e64 v6, null, s17, v6, vcc_lo
	s_waitcnt vmcnt(0) lgkmcnt(0)
	v_subrev_nc_u32_e32 v7, s12, v7
	s_inst_prefetch 0x1
	s_branch .LBB8_4
	.p2align	6
.LBB8_3:                                ;   in Loop: Header=BB8_4 Depth=1
	s_or_b32 exec_lo, exec_lo, s20
	s_and_b32 s0, exec_lo, s19
	s_or_b32 s13, s0, s13
	s_andn2_b32 exec_lo, exec_lo, s13
	s_cbranch_execz .LBB8_6
.LBB8_4:                                ; =>This Inner Loop Header: Depth=1
	global_load_dword v1, v[3:4], off
	s_or_b32 s19, s19, exec_lo
	s_mov_b32 s20, exec_lo
	s_waitcnt vmcnt(0)
	v_subrev_nc_u32_e32 v1, s1, v1
	v_cmpx_ge_i32_e64 v2, v1
	s_cbranch_execz .LBB8_3
; %bb.5:                                ;   in Loop: Header=BB8_4 Depth=1
	global_load_dwordx2 v[11:12], v[5:6], off
	v_ashrrev_i32_e32 v8, 31, v7
	v_add_nc_u32_e32 v0, 1, v0
	v_add_co_u32 v5, s0, v5, 8
	v_add_nc_u32_e32 v1, s12, v1
	v_lshlrev_b64 v[13:14], 3, v[7:8]
	v_lshlrev_b64 v[15:16], 2, v[7:8]
	v_add_co_ci_u32_e64 v6, null, 0, v6, s0
	v_add_nc_u32_e32 v7, 1, v7
	s_andn2_b32 s0, s19, exec_lo
	v_add_co_u32 v13, vcc_lo, s8, v13
	v_add_co_ci_u32_e64 v14, null, s9, v14, vcc_lo
	v_add_co_u32 v15, vcc_lo, s14, v15
	v_add_co_ci_u32_e64 v16, null, s15, v16, vcc_lo
	;; [unrolled: 2-line block ×3, first 2 shown]
	v_cmp_ge_i32_e32 vcc_lo, v0, v9
	global_store_dword v[15:16], v1, off
	s_and_b32 s19, vcc_lo, exec_lo
	s_or_b32 s19, s0, s19
	s_waitcnt vmcnt(0)
	global_store_dwordx2 v[13:14], v[11:12], off
	s_branch .LBB8_3
.LBB8_6:
	s_inst_prefetch 0x2
	s_or_b32 exec_lo, exec_lo, s13
.LBB8_7:
	s_or_b32 exec_lo, exec_lo, s18
	v_cmp_lt_i32_e32 vcc_lo, v0, v9
	s_and_b32 exec_lo, exec_lo, vcc_lo
	s_cbranch_execz .LBB8_10
; %bb.8:
	s_load_dword s0, s[4:5], 0x60
	v_ashrrev_i32_e32 v1, 31, v0
	s_mov_b32 s4, 0
	v_lshlrev_b64 v[2:3], 2, v[0:1]
	v_lshlrev_b64 v[4:5], 3, v[0:1]
	v_add_co_u32 v1, vcc_lo, s10, v2
	v_add_co_ci_u32_e64 v2, null, s11, v3, vcc_lo
	v_add_co_u32 v3, vcc_lo, s16, v4
	v_add_co_ci_u32_e64 v4, null, s17, v5, vcc_lo
	s_waitcnt vmcnt(0) lgkmcnt(0)
	v_subrev_nc_u32_e32 v5, s0, v10
	s_sub_i32 s1, s0, s1
	s_inst_prefetch 0x1
	.p2align	6
.LBB8_9:                                ; =>This Inner Loop Header: Depth=1
	global_load_dword v14, v[1:2], off
	global_load_dwordx2 v[7:8], v[3:4], off
	v_ashrrev_i32_e32 v6, 31, v5
	v_add_nc_u32_e32 v0, 1, v0
	v_add_co_u32 v1, vcc_lo, v1, 4
	v_add_co_ci_u32_e64 v2, null, 0, v2, vcc_lo
	v_lshlrev_b64 v[10:11], 2, v[5:6]
	v_lshlrev_b64 v[12:13], 3, v[5:6]
	v_add_co_u32 v3, vcc_lo, v3, 8
	v_add_co_ci_u32_e64 v4, null, 0, v4, vcc_lo
	v_add_co_u32 v10, s0, s2, v10
	v_cmp_ge_i32_e32 vcc_lo, v0, v9
	v_add_co_ci_u32_e64 v11, null, s3, v11, s0
	v_add_co_u32 v12, s0, s6, v12
	v_add_co_ci_u32_e64 v13, null, s7, v13, s0
	v_add_nc_u32_e32 v5, 1, v5
	s_or_b32 s4, vcc_lo, s4
	s_waitcnt vmcnt(1)
	v_add_nc_u32_e32 v6, s1, v14
	s_waitcnt vmcnt(0)
	global_store_dwordx2 v[12:13], v[7:8], off
	global_store_dword v[10:11], v6, off
	s_andn2_b32 exec_lo, exec_lo, s4
	s_cbranch_execnz .LBB8_9
.LBB8_10:
	s_inst_prefetch 0x2
	s_endpgm
	.section	.rodata,"a",@progbits
	.p2align	6, 0x0
	.amdhsa_kernel _ZN9rocsparseL19csxsldu_fill_kernelILj1024EL20rocsparse_diag_type_0ELS1_1EdiiEEvT4_PKT3_PKS2_PKT2_21rocsparse_index_base_S5_PS2_PS8_SB_S5_SC_SD_SB_SD_
		.amdhsa_group_segment_fixed_size 0
		.amdhsa_private_segment_fixed_size 0
		.amdhsa_kernarg_size 368
		.amdhsa_user_sgpr_count 6
		.amdhsa_user_sgpr_private_segment_buffer 1
		.amdhsa_user_sgpr_dispatch_ptr 0
		.amdhsa_user_sgpr_queue_ptr 0
		.amdhsa_user_sgpr_kernarg_segment_ptr 1
		.amdhsa_user_sgpr_dispatch_id 0
		.amdhsa_user_sgpr_flat_scratch_init 0
		.amdhsa_user_sgpr_private_segment_size 0
		.amdhsa_wavefront_size32 1
		.amdhsa_uses_dynamic_stack 0
		.amdhsa_system_sgpr_private_segment_wavefront_offset 0
		.amdhsa_system_sgpr_workgroup_id_x 1
		.amdhsa_system_sgpr_workgroup_id_y 0
		.amdhsa_system_sgpr_workgroup_id_z 0
		.amdhsa_system_sgpr_workgroup_info 0
		.amdhsa_system_vgpr_workitem_id 0
		.amdhsa_next_free_vgpr 17
		.amdhsa_next_free_sgpr 21
		.amdhsa_reserve_vcc 1
		.amdhsa_reserve_flat_scratch 0
		.amdhsa_float_round_mode_32 0
		.amdhsa_float_round_mode_16_64 0
		.amdhsa_float_denorm_mode_32 3
		.amdhsa_float_denorm_mode_16_64 3
		.amdhsa_dx10_clamp 1
		.amdhsa_ieee_mode 1
		.amdhsa_fp16_overflow 0
		.amdhsa_workgroup_processor_mode 1
		.amdhsa_memory_ordered 1
		.amdhsa_forward_progress 1
		.amdhsa_shared_vgpr_count 0
		.amdhsa_exception_fp_ieee_invalid_op 0
		.amdhsa_exception_fp_denorm_src 0
		.amdhsa_exception_fp_ieee_div_zero 0
		.amdhsa_exception_fp_ieee_overflow 0
		.amdhsa_exception_fp_ieee_underflow 0
		.amdhsa_exception_fp_ieee_inexact 0
		.amdhsa_exception_int_div_zero 0
	.end_amdhsa_kernel
	.section	.text._ZN9rocsparseL19csxsldu_fill_kernelILj1024EL20rocsparse_diag_type_0ELS1_1EdiiEEvT4_PKT3_PKS2_PKT2_21rocsparse_index_base_S5_PS2_PS8_SB_S5_SC_SD_SB_SD_,"axG",@progbits,_ZN9rocsparseL19csxsldu_fill_kernelILj1024EL20rocsparse_diag_type_0ELS1_1EdiiEEvT4_PKT3_PKS2_PKT2_21rocsparse_index_base_S5_PS2_PS8_SB_S5_SC_SD_SB_SD_,comdat
.Lfunc_end8:
	.size	_ZN9rocsparseL19csxsldu_fill_kernelILj1024EL20rocsparse_diag_type_0ELS1_1EdiiEEvT4_PKT3_PKS2_PKT2_21rocsparse_index_base_S5_PS2_PS8_SB_S5_SC_SD_SB_SD_, .Lfunc_end8-_ZN9rocsparseL19csxsldu_fill_kernelILj1024EL20rocsparse_diag_type_0ELS1_1EdiiEEvT4_PKT3_PKS2_PKT2_21rocsparse_index_base_S5_PS2_PS8_SB_S5_SC_SD_SB_SD_
                                        ; -- End function
	.set _ZN9rocsparseL19csxsldu_fill_kernelILj1024EL20rocsparse_diag_type_0ELS1_1EdiiEEvT4_PKT3_PKS2_PKT2_21rocsparse_index_base_S5_PS2_PS8_SB_S5_SC_SD_SB_SD_.num_vgpr, 17
	.set _ZN9rocsparseL19csxsldu_fill_kernelILj1024EL20rocsparse_diag_type_0ELS1_1EdiiEEvT4_PKT3_PKS2_PKT2_21rocsparse_index_base_S5_PS2_PS8_SB_S5_SC_SD_SB_SD_.num_agpr, 0
	.set _ZN9rocsparseL19csxsldu_fill_kernelILj1024EL20rocsparse_diag_type_0ELS1_1EdiiEEvT4_PKT3_PKS2_PKT2_21rocsparse_index_base_S5_PS2_PS8_SB_S5_SC_SD_SB_SD_.numbered_sgpr, 21
	.set _ZN9rocsparseL19csxsldu_fill_kernelILj1024EL20rocsparse_diag_type_0ELS1_1EdiiEEvT4_PKT3_PKS2_PKT2_21rocsparse_index_base_S5_PS2_PS8_SB_S5_SC_SD_SB_SD_.num_named_barrier, 0
	.set _ZN9rocsparseL19csxsldu_fill_kernelILj1024EL20rocsparse_diag_type_0ELS1_1EdiiEEvT4_PKT3_PKS2_PKT2_21rocsparse_index_base_S5_PS2_PS8_SB_S5_SC_SD_SB_SD_.private_seg_size, 0
	.set _ZN9rocsparseL19csxsldu_fill_kernelILj1024EL20rocsparse_diag_type_0ELS1_1EdiiEEvT4_PKT3_PKS2_PKT2_21rocsparse_index_base_S5_PS2_PS8_SB_S5_SC_SD_SB_SD_.uses_vcc, 1
	.set _ZN9rocsparseL19csxsldu_fill_kernelILj1024EL20rocsparse_diag_type_0ELS1_1EdiiEEvT4_PKT3_PKS2_PKT2_21rocsparse_index_base_S5_PS2_PS8_SB_S5_SC_SD_SB_SD_.uses_flat_scratch, 0
	.set _ZN9rocsparseL19csxsldu_fill_kernelILj1024EL20rocsparse_diag_type_0ELS1_1EdiiEEvT4_PKT3_PKS2_PKT2_21rocsparse_index_base_S5_PS2_PS8_SB_S5_SC_SD_SB_SD_.has_dyn_sized_stack, 0
	.set _ZN9rocsparseL19csxsldu_fill_kernelILj1024EL20rocsparse_diag_type_0ELS1_1EdiiEEvT4_PKT3_PKS2_PKT2_21rocsparse_index_base_S5_PS2_PS8_SB_S5_SC_SD_SB_SD_.has_recursion, 0
	.set _ZN9rocsparseL19csxsldu_fill_kernelILj1024EL20rocsparse_diag_type_0ELS1_1EdiiEEvT4_PKT3_PKS2_PKT2_21rocsparse_index_base_S5_PS2_PS8_SB_S5_SC_SD_SB_SD_.has_indirect_call, 0
	.section	.AMDGPU.csdata,"",@progbits
; Kernel info:
; codeLenInByte = 864
; TotalNumSgprs: 23
; NumVgprs: 17
; ScratchSize: 0
; MemoryBound: 0
; FloatMode: 240
; IeeeMode: 1
; LDSByteSize: 0 bytes/workgroup (compile time only)
; SGPRBlocks: 0
; VGPRBlocks: 2
; NumSGPRsForWavesPerEU: 23
; NumVGPRsForWavesPerEU: 17
; Occupancy: 16
; WaveLimiterHint : 0
; COMPUTE_PGM_RSRC2:SCRATCH_EN: 0
; COMPUTE_PGM_RSRC2:USER_SGPR: 6
; COMPUTE_PGM_RSRC2:TRAP_HANDLER: 0
; COMPUTE_PGM_RSRC2:TGID_X_EN: 1
; COMPUTE_PGM_RSRC2:TGID_Y_EN: 0
; COMPUTE_PGM_RSRC2:TGID_Z_EN: 0
; COMPUTE_PGM_RSRC2:TIDIG_COMP_CNT: 0
	.section	.text._ZN9rocsparseL19csxsldu_fill_kernelILj1024EL20rocsparse_diag_type_1ELS1_0E21rocsparse_complex_numIfEiiEEvT4_PKT3_PKS4_PKT2_21rocsparse_index_base_S7_PS4_PSA_SD_S7_SE_SF_SD_SF_,"axG",@progbits,_ZN9rocsparseL19csxsldu_fill_kernelILj1024EL20rocsparse_diag_type_1ELS1_0E21rocsparse_complex_numIfEiiEEvT4_PKT3_PKS4_PKT2_21rocsparse_index_base_S7_PS4_PSA_SD_S7_SE_SF_SD_SF_,comdat
	.globl	_ZN9rocsparseL19csxsldu_fill_kernelILj1024EL20rocsparse_diag_type_1ELS1_0E21rocsparse_complex_numIfEiiEEvT4_PKT3_PKS4_PKT2_21rocsparse_index_base_S7_PS4_PSA_SD_S7_SE_SF_SD_SF_ ; -- Begin function _ZN9rocsparseL19csxsldu_fill_kernelILj1024EL20rocsparse_diag_type_1ELS1_0E21rocsparse_complex_numIfEiiEEvT4_PKT3_PKS4_PKT2_21rocsparse_index_base_S7_PS4_PSA_SD_S7_SE_SF_SD_SF_
	.p2align	8
	.type	_ZN9rocsparseL19csxsldu_fill_kernelILj1024EL20rocsparse_diag_type_1ELS1_0E21rocsparse_complex_numIfEiiEEvT4_PKT3_PKS4_PKT2_21rocsparse_index_base_S7_PS4_PSA_SD_S7_SE_SF_SD_SF_,@function
_ZN9rocsparseL19csxsldu_fill_kernelILj1024EL20rocsparse_diag_type_1ELS1_0E21rocsparse_complex_numIfEiiEEvT4_PKT3_PKS4_PKT2_21rocsparse_index_base_S7_PS4_PSA_SD_S7_SE_SF_SD_SF_: ; @_ZN9rocsparseL19csxsldu_fill_kernelILj1024EL20rocsparse_diag_type_1ELS1_0E21rocsparse_complex_numIfEiiEEvT4_PKT3_PKS4_PKT2_21rocsparse_index_base_S7_PS4_PSA_SD_S7_SE_SF_SD_SF_
; %bb.0:
	s_clause 0x1
	s_load_dword s0, s[4:5], 0x7c
	s_load_dword s1, s[4:5], 0x0
	s_waitcnt lgkmcnt(0)
	s_and_b32 s0, s0, 0xffff
	v_mad_u64_u32 v[2:3], null, s6, s0, v[0:1]
	s_mov_b32 s0, exec_lo
	v_cmpx_gt_i32_e64 s1, v2
	s_cbranch_execz .LBB9_10
; %bb.1:
	s_clause 0x1
	s_load_dwordx4 s[8:11], s[4:5], 0x8
	s_load_dwordx4 s[0:3], s[4:5], 0x48
	v_ashrrev_i32_e32 v3, 31, v2
	s_load_dwordx2 s[16:17], s[4:5], 0x18
	s_mov_b32 s18, exec_lo
	v_lshlrev_b64 v[3:4], 2, v[2:3]
	s_waitcnt lgkmcnt(0)
	v_add_co_u32 v0, vcc_lo, s8, v3
	v_add_co_ci_u32_e64 v1, null, s9, v4, vcc_lo
	global_load_dwordx2 v[5:6], v[0:1], off
	v_add_co_u32 v0, vcc_lo, s0, v3
	v_add_co_ci_u32_e64 v1, null, s1, v4, vcc_lo
	global_load_dword v10, v[0:1], off
	s_clause 0x1
	s_load_dword s1, s[4:5], 0x20
	s_load_dwordx2 s[6:7], s[4:5], 0x58
	s_waitcnt vmcnt(1) lgkmcnt(0)
	v_subrev_nc_u32_e32 v0, s1, v5
	v_subrev_nc_u32_e32 v9, s1, v6
	v_cmpx_lt_i32_e64 v5, v6
	s_cbranch_execz .LBB9_7
; %bb.2:
	s_clause 0x1
	s_load_dwordx4 s[12:15], s[4:5], 0x28
	s_load_dwordx2 s[8:9], s[4:5], 0x38
	v_ashrrev_i32_e32 v1, 31, v0
                                        ; implicit-def: $sgpr19
	v_lshlrev_b64 v[5:6], 3, v[0:1]
	s_waitcnt lgkmcnt(0)
	v_add_co_u32 v3, vcc_lo, s12, v3
	v_add_co_ci_u32_e64 v4, null, s13, v4, vcc_lo
	s_load_dword s12, s[4:5], 0x40
	s_mov_b32 s13, 0
	global_load_dword v7, v[3:4], off
	v_lshlrev_b64 v[3:4], 2, v[0:1]
	v_add_co_u32 v3, vcc_lo, s10, v3
	v_add_co_ci_u32_e64 v4, null, s11, v4, vcc_lo
	v_add_co_u32 v5, vcc_lo, s16, v5
	v_add_co_ci_u32_e64 v6, null, s17, v6, vcc_lo
	s_waitcnt vmcnt(0) lgkmcnt(0)
	v_subrev_nc_u32_e32 v7, s12, v7
	s_inst_prefetch 0x1
	s_branch .LBB9_4
	.p2align	6
.LBB9_3:                                ;   in Loop: Header=BB9_4 Depth=1
	s_or_b32 exec_lo, exec_lo, s20
	s_and_b32 s0, exec_lo, s19
	s_or_b32 s13, s0, s13
	s_andn2_b32 exec_lo, exec_lo, s13
	s_cbranch_execz .LBB9_6
.LBB9_4:                                ; =>This Inner Loop Header: Depth=1
	global_load_dword v1, v[3:4], off
	s_or_b32 s19, s19, exec_lo
	s_mov_b32 s20, exec_lo
	s_waitcnt vmcnt(0)
	v_subrev_nc_u32_e32 v1, s1, v1
	v_cmpx_gt_i32_e64 v2, v1
	s_cbranch_execz .LBB9_3
; %bb.5:                                ;   in Loop: Header=BB9_4 Depth=1
	v_ashrrev_i32_e32 v8, 31, v7
	v_add_nc_u32_e32 v1, s12, v1
	v_add_nc_u32_e32 v0, 1, v0
	v_lshlrev_b64 v[11:12], 2, v[7:8]
	v_lshlrev_b64 v[13:14], 3, v[7:8]
	v_add_nc_u32_e32 v7, 1, v7
	v_add_co_u32 v11, vcc_lo, s14, v11
	v_add_co_ci_u32_e64 v12, null, s15, v12, vcc_lo
	v_add_co_u32 v13, vcc_lo, s8, v13
	v_add_co_ci_u32_e64 v14, null, s9, v14, vcc_lo
	global_store_dword v[11:12], v1, off
	global_load_dwordx2 v[11:12], v[5:6], off
	v_add_co_u32 v3, vcc_lo, v3, 4
	v_add_co_ci_u32_e64 v4, null, 0, v4, vcc_lo
	v_cmp_ge_i32_e32 vcc_lo, v0, v9
	v_add_co_u32 v5, s0, v5, 8
	v_add_co_ci_u32_e64 v6, null, 0, v6, s0
	s_andn2_b32 s0, s19, exec_lo
	s_and_b32 s19, vcc_lo, exec_lo
	s_or_b32 s19, s0, s19
	s_waitcnt vmcnt(0)
	global_store_dwordx2 v[13:14], v[11:12], off
	s_branch .LBB9_3
.LBB9_6:
	s_inst_prefetch 0x2
	s_or_b32 exec_lo, exec_lo, s13
.LBB9_7:
	s_or_b32 exec_lo, exec_lo, s18
	v_cmp_lt_i32_e32 vcc_lo, v0, v9
	s_and_b32 exec_lo, exec_lo, vcc_lo
	s_cbranch_execz .LBB9_10
; %bb.8:
	s_load_dword s0, s[4:5], 0x60
	v_ashrrev_i32_e32 v1, 31, v0
	s_mov_b32 s4, 0
	v_lshlrev_b64 v[2:3], 2, v[0:1]
	v_lshlrev_b64 v[4:5], 3, v[0:1]
	v_add_co_u32 v1, vcc_lo, s10, v2
	v_add_co_ci_u32_e64 v2, null, s11, v3, vcc_lo
	v_add_co_u32 v3, vcc_lo, s16, v4
	v_add_co_ci_u32_e64 v4, null, s17, v5, vcc_lo
	s_waitcnt vmcnt(0) lgkmcnt(0)
	v_subrev_nc_u32_e32 v5, s0, v10
	s_sub_i32 s1, s0, s1
	s_inst_prefetch 0x1
	.p2align	6
.LBB9_9:                                ; =>This Inner Loop Header: Depth=1
	global_load_dword v10, v[1:2], off
	v_ashrrev_i32_e32 v6, 31, v5
	v_add_nc_u32_e32 v0, 1, v0
	v_lshlrev_b64 v[7:8], 2, v[5:6]
	v_add_co_u32 v7, vcc_lo, s2, v7
	v_add_co_ci_u32_e64 v8, null, s3, v8, vcc_lo
	v_add_co_u32 v1, vcc_lo, v1, 4
	v_add_co_ci_u32_e64 v2, null, 0, v2, vcc_lo
	v_cmp_ge_i32_e32 vcc_lo, v0, v9
	s_or_b32 s4, vcc_lo, s4
	s_waitcnt vmcnt(0)
	v_add_nc_u32_e32 v10, s1, v10
	global_store_dword v[7:8], v10, off
	global_load_dwordx2 v[7:8], v[3:4], off
	v_lshlrev_b64 v[10:11], 3, v[5:6]
	v_add_nc_u32_e32 v5, 1, v5
	v_add_co_u32 v10, s0, s6, v10
	v_add_co_ci_u32_e64 v11, null, s7, v11, s0
	v_add_co_u32 v3, s0, v3, 8
	v_add_co_ci_u32_e64 v4, null, 0, v4, s0
	s_waitcnt vmcnt(0)
	global_store_dwordx2 v[10:11], v[7:8], off
	s_andn2_b32 exec_lo, exec_lo, s4
	s_cbranch_execnz .LBB9_9
.LBB9_10:
	s_inst_prefetch 0x2
	s_endpgm
	.section	.rodata,"a",@progbits
	.p2align	6, 0x0
	.amdhsa_kernel _ZN9rocsparseL19csxsldu_fill_kernelILj1024EL20rocsparse_diag_type_1ELS1_0E21rocsparse_complex_numIfEiiEEvT4_PKT3_PKS4_PKT2_21rocsparse_index_base_S7_PS4_PSA_SD_S7_SE_SF_SD_SF_
		.amdhsa_group_segment_fixed_size 0
		.amdhsa_private_segment_fixed_size 0
		.amdhsa_kernarg_size 368
		.amdhsa_user_sgpr_count 6
		.amdhsa_user_sgpr_private_segment_buffer 1
		.amdhsa_user_sgpr_dispatch_ptr 0
		.amdhsa_user_sgpr_queue_ptr 0
		.amdhsa_user_sgpr_kernarg_segment_ptr 1
		.amdhsa_user_sgpr_dispatch_id 0
		.amdhsa_user_sgpr_flat_scratch_init 0
		.amdhsa_user_sgpr_private_segment_size 0
		.amdhsa_wavefront_size32 1
		.amdhsa_uses_dynamic_stack 0
		.amdhsa_system_sgpr_private_segment_wavefront_offset 0
		.amdhsa_system_sgpr_workgroup_id_x 1
		.amdhsa_system_sgpr_workgroup_id_y 0
		.amdhsa_system_sgpr_workgroup_id_z 0
		.amdhsa_system_sgpr_workgroup_info 0
		.amdhsa_system_vgpr_workitem_id 0
		.amdhsa_next_free_vgpr 15
		.amdhsa_next_free_sgpr 21
		.amdhsa_reserve_vcc 1
		.amdhsa_reserve_flat_scratch 0
		.amdhsa_float_round_mode_32 0
		.amdhsa_float_round_mode_16_64 0
		.amdhsa_float_denorm_mode_32 3
		.amdhsa_float_denorm_mode_16_64 3
		.amdhsa_dx10_clamp 1
		.amdhsa_ieee_mode 1
		.amdhsa_fp16_overflow 0
		.amdhsa_workgroup_processor_mode 1
		.amdhsa_memory_ordered 1
		.amdhsa_forward_progress 1
		.amdhsa_shared_vgpr_count 0
		.amdhsa_exception_fp_ieee_invalid_op 0
		.amdhsa_exception_fp_denorm_src 0
		.amdhsa_exception_fp_ieee_div_zero 0
		.amdhsa_exception_fp_ieee_overflow 0
		.amdhsa_exception_fp_ieee_underflow 0
		.amdhsa_exception_fp_ieee_inexact 0
		.amdhsa_exception_int_div_zero 0
	.end_amdhsa_kernel
	.section	.text._ZN9rocsparseL19csxsldu_fill_kernelILj1024EL20rocsparse_diag_type_1ELS1_0E21rocsparse_complex_numIfEiiEEvT4_PKT3_PKS4_PKT2_21rocsparse_index_base_S7_PS4_PSA_SD_S7_SE_SF_SD_SF_,"axG",@progbits,_ZN9rocsparseL19csxsldu_fill_kernelILj1024EL20rocsparse_diag_type_1ELS1_0E21rocsparse_complex_numIfEiiEEvT4_PKT3_PKS4_PKT2_21rocsparse_index_base_S7_PS4_PSA_SD_S7_SE_SF_SD_SF_,comdat
.Lfunc_end9:
	.size	_ZN9rocsparseL19csxsldu_fill_kernelILj1024EL20rocsparse_diag_type_1ELS1_0E21rocsparse_complex_numIfEiiEEvT4_PKT3_PKS4_PKT2_21rocsparse_index_base_S7_PS4_PSA_SD_S7_SE_SF_SD_SF_, .Lfunc_end9-_ZN9rocsparseL19csxsldu_fill_kernelILj1024EL20rocsparse_diag_type_1ELS1_0E21rocsparse_complex_numIfEiiEEvT4_PKT3_PKS4_PKT2_21rocsparse_index_base_S7_PS4_PSA_SD_S7_SE_SF_SD_SF_
                                        ; -- End function
	.set _ZN9rocsparseL19csxsldu_fill_kernelILj1024EL20rocsparse_diag_type_1ELS1_0E21rocsparse_complex_numIfEiiEEvT4_PKT3_PKS4_PKT2_21rocsparse_index_base_S7_PS4_PSA_SD_S7_SE_SF_SD_SF_.num_vgpr, 15
	.set _ZN9rocsparseL19csxsldu_fill_kernelILj1024EL20rocsparse_diag_type_1ELS1_0E21rocsparse_complex_numIfEiiEEvT4_PKT3_PKS4_PKT2_21rocsparse_index_base_S7_PS4_PSA_SD_S7_SE_SF_SD_SF_.num_agpr, 0
	.set _ZN9rocsparseL19csxsldu_fill_kernelILj1024EL20rocsparse_diag_type_1ELS1_0E21rocsparse_complex_numIfEiiEEvT4_PKT3_PKS4_PKT2_21rocsparse_index_base_S7_PS4_PSA_SD_S7_SE_SF_SD_SF_.numbered_sgpr, 21
	.set _ZN9rocsparseL19csxsldu_fill_kernelILj1024EL20rocsparse_diag_type_1ELS1_0E21rocsparse_complex_numIfEiiEEvT4_PKT3_PKS4_PKT2_21rocsparse_index_base_S7_PS4_PSA_SD_S7_SE_SF_SD_SF_.num_named_barrier, 0
	.set _ZN9rocsparseL19csxsldu_fill_kernelILj1024EL20rocsparse_diag_type_1ELS1_0E21rocsparse_complex_numIfEiiEEvT4_PKT3_PKS4_PKT2_21rocsparse_index_base_S7_PS4_PSA_SD_S7_SE_SF_SD_SF_.private_seg_size, 0
	.set _ZN9rocsparseL19csxsldu_fill_kernelILj1024EL20rocsparse_diag_type_1ELS1_0E21rocsparse_complex_numIfEiiEEvT4_PKT3_PKS4_PKT2_21rocsparse_index_base_S7_PS4_PSA_SD_S7_SE_SF_SD_SF_.uses_vcc, 1
	.set _ZN9rocsparseL19csxsldu_fill_kernelILj1024EL20rocsparse_diag_type_1ELS1_0E21rocsparse_complex_numIfEiiEEvT4_PKT3_PKS4_PKT2_21rocsparse_index_base_S7_PS4_PSA_SD_S7_SE_SF_SD_SF_.uses_flat_scratch, 0
	.set _ZN9rocsparseL19csxsldu_fill_kernelILj1024EL20rocsparse_diag_type_1ELS1_0E21rocsparse_complex_numIfEiiEEvT4_PKT3_PKS4_PKT2_21rocsparse_index_base_S7_PS4_PSA_SD_S7_SE_SF_SD_SF_.has_dyn_sized_stack, 0
	.set _ZN9rocsparseL19csxsldu_fill_kernelILj1024EL20rocsparse_diag_type_1ELS1_0E21rocsparse_complex_numIfEiiEEvT4_PKT3_PKS4_PKT2_21rocsparse_index_base_S7_PS4_PSA_SD_S7_SE_SF_SD_SF_.has_recursion, 0
	.set _ZN9rocsparseL19csxsldu_fill_kernelILj1024EL20rocsparse_diag_type_1ELS1_0E21rocsparse_complex_numIfEiiEEvT4_PKT3_PKS4_PKT2_21rocsparse_index_base_S7_PS4_PSA_SD_S7_SE_SF_SD_SF_.has_indirect_call, 0
	.section	.AMDGPU.csdata,"",@progbits
; Kernel info:
; codeLenInByte = 864
; TotalNumSgprs: 23
; NumVgprs: 15
; ScratchSize: 0
; MemoryBound: 0
; FloatMode: 240
; IeeeMode: 1
; LDSByteSize: 0 bytes/workgroup (compile time only)
; SGPRBlocks: 0
; VGPRBlocks: 1
; NumSGPRsForWavesPerEU: 23
; NumVGPRsForWavesPerEU: 15
; Occupancy: 16
; WaveLimiterHint : 0
; COMPUTE_PGM_RSRC2:SCRATCH_EN: 0
; COMPUTE_PGM_RSRC2:USER_SGPR: 6
; COMPUTE_PGM_RSRC2:TRAP_HANDLER: 0
; COMPUTE_PGM_RSRC2:TGID_X_EN: 1
; COMPUTE_PGM_RSRC2:TGID_Y_EN: 0
; COMPUTE_PGM_RSRC2:TGID_Z_EN: 0
; COMPUTE_PGM_RSRC2:TIDIG_COMP_CNT: 0
	.section	.text._ZN9rocsparseL19csxsldu_fill_kernelILj1024EL20rocsparse_diag_type_1ELS1_1E21rocsparse_complex_numIfEiiEEvT4_PKT3_PKS4_PKT2_21rocsparse_index_base_S7_PS4_PSA_SD_S7_SE_SF_SD_SF_,"axG",@progbits,_ZN9rocsparseL19csxsldu_fill_kernelILj1024EL20rocsparse_diag_type_1ELS1_1E21rocsparse_complex_numIfEiiEEvT4_PKT3_PKS4_PKT2_21rocsparse_index_base_S7_PS4_PSA_SD_S7_SE_SF_SD_SF_,comdat
	.globl	_ZN9rocsparseL19csxsldu_fill_kernelILj1024EL20rocsparse_diag_type_1ELS1_1E21rocsparse_complex_numIfEiiEEvT4_PKT3_PKS4_PKT2_21rocsparse_index_base_S7_PS4_PSA_SD_S7_SE_SF_SD_SF_ ; -- Begin function _ZN9rocsparseL19csxsldu_fill_kernelILj1024EL20rocsparse_diag_type_1ELS1_1E21rocsparse_complex_numIfEiiEEvT4_PKT3_PKS4_PKT2_21rocsparse_index_base_S7_PS4_PSA_SD_S7_SE_SF_SD_SF_
	.p2align	8
	.type	_ZN9rocsparseL19csxsldu_fill_kernelILj1024EL20rocsparse_diag_type_1ELS1_1E21rocsparse_complex_numIfEiiEEvT4_PKT3_PKS4_PKT2_21rocsparse_index_base_S7_PS4_PSA_SD_S7_SE_SF_SD_SF_,@function
_ZN9rocsparseL19csxsldu_fill_kernelILj1024EL20rocsparse_diag_type_1ELS1_1E21rocsparse_complex_numIfEiiEEvT4_PKT3_PKS4_PKT2_21rocsparse_index_base_S7_PS4_PSA_SD_S7_SE_SF_SD_SF_: ; @_ZN9rocsparseL19csxsldu_fill_kernelILj1024EL20rocsparse_diag_type_1ELS1_1E21rocsparse_complex_numIfEiiEEvT4_PKT3_PKS4_PKT2_21rocsparse_index_base_S7_PS4_PSA_SD_S7_SE_SF_SD_SF_
; %bb.0:
	s_clause 0x1
	s_load_dword s0, s[4:5], 0x7c
	s_load_dword s1, s[4:5], 0x0
	s_waitcnt lgkmcnt(0)
	s_and_b32 s0, s0, 0xffff
	v_mad_u64_u32 v[2:3], null, s6, s0, v[0:1]
	s_mov_b32 s0, exec_lo
	v_cmpx_gt_i32_e64 s1, v2
	s_cbranch_execz .LBB10_14
; %bb.1:
	s_clause 0x1
	s_load_dwordx4 s[8:11], s[4:5], 0x8
	s_load_dwordx4 s[0:3], s[4:5], 0x48
	v_ashrrev_i32_e32 v3, 31, v2
	s_load_dwordx2 s[16:17], s[4:5], 0x18
	s_mov_b32 s18, exec_lo
	v_lshlrev_b64 v[4:5], 2, v[2:3]
	s_waitcnt lgkmcnt(0)
	v_add_co_u32 v0, vcc_lo, s8, v4
	v_add_co_ci_u32_e64 v1, null, s9, v5, vcc_lo
	global_load_dwordx2 v[6:7], v[0:1], off
	v_add_co_u32 v0, vcc_lo, s0, v4
	v_add_co_ci_u32_e64 v1, null, s1, v5, vcc_lo
	global_load_dword v13, v[0:1], off
	s_clause 0x1
	s_load_dword s1, s[4:5], 0x20
	s_load_dwordx2 s[6:7], s[4:5], 0x58
	s_waitcnt vmcnt(1) lgkmcnt(0)
	v_subrev_nc_u32_e32 v0, s1, v6
	v_subrev_nc_u32_e32 v12, s1, v7
	v_cmpx_lt_i32_e64 v6, v7
	s_cbranch_execz .LBB10_11
; %bb.2:
	s_clause 0x1
	s_load_dwordx4 s[12:15], s[4:5], 0x28
	s_load_dwordx2 s[8:9], s[4:5], 0x38
	v_ashrrev_i32_e32 v1, 31, v0
	s_mov_b32 s19, 0
                                        ; implicit-def: $sgpr21
                                        ; implicit-def: $sgpr20
	v_lshlrev_b64 v[8:9], 3, v[0:1]
	s_waitcnt lgkmcnt(0)
	v_add_co_u32 v4, vcc_lo, s12, v4
	v_add_co_ci_u32_e64 v5, null, s13, v5, vcc_lo
	s_load_dword s12, s[4:5], 0x40
                                        ; implicit-def: $sgpr13
	global_load_dword v10, v[4:5], off
	v_lshlrev_b64 v[4:5], 2, v[0:1]
	v_add_co_u32 v6, vcc_lo, s10, v4
	v_add_co_ci_u32_e64 v7, null, s11, v5, vcc_lo
	v_add_co_u32 v8, vcc_lo, s16, v8
	v_add_co_ci_u32_e64 v9, null, s17, v9, vcc_lo
	s_waitcnt vmcnt(0) lgkmcnt(0)
	v_subrev_nc_u32_e32 v10, s12, v10
	s_branch .LBB10_4
.LBB10_3:                               ;   in Loop: Header=BB10_4 Depth=1
	s_or_b32 exec_lo, exec_lo, s22
	s_and_b32 s0, exec_lo, s21
	s_or_b32 s19, s0, s19
	s_andn2_b32 s0, s13, exec_lo
	s_and_b32 s13, s20, exec_lo
	s_or_b32 s13, s0, s13
	s_andn2_b32 exec_lo, exec_lo, s19
	s_cbranch_execz .LBB10_6
.LBB10_4:                               ; =>This Inner Loop Header: Depth=1
	global_load_dword v4, v[6:7], off
	s_or_b32 s20, s20, exec_lo
	s_or_b32 s21, s21, exec_lo
	s_mov_b32 s22, exec_lo
	s_waitcnt vmcnt(0)
	v_subrev_nc_u32_e32 v14, s1, v4
	v_mov_b32_e32 v5, v1
	v_mov_b32_e32 v4, v0
                                        ; implicit-def: $vgpr0_vgpr1
	v_cmpx_gt_i32_e64 v2, v14
	s_cbranch_execz .LBB10_3
; %bb.5:                                ;   in Loop: Header=BB10_4 Depth=1
	v_ashrrev_i32_e32 v11, 31, v10
	v_add_nc_u32_e32 v15, s12, v14
	s_andn2_b32 s20, s20, exec_lo
	v_lshlrev_b64 v[0:1], 2, v[10:11]
	v_add_co_u32 v0, vcc_lo, s14, v0
	v_add_co_ci_u32_e64 v1, null, s15, v1, vcc_lo
	global_store_dword v[0:1], v15, off
	global_load_dwordx2 v[15:16], v[8:9], off
	v_lshlrev_b64 v[0:1], 3, v[10:11]
	v_add_co_u32 v8, s0, v8, 8
	v_add_co_ci_u32_e64 v9, null, 0, v9, s0
	v_add_nc_u32_e32 v10, 1, v10
	v_add_co_u32 v17, vcc_lo, s8, v0
	v_add_co_ci_u32_e64 v18, null, s9, v1, vcc_lo
	v_add_co_u32 v0, vcc_lo, v4, 1
	v_add_co_ci_u32_e64 v1, null, 0, v5, vcc_lo
	;; [unrolled: 2-line block ×3, first 2 shown]
	v_cmp_ge_i32_e32 vcc_lo, v0, v12
	s_andn2_b32 s0, s21, exec_lo
	s_and_b32 s21, vcc_lo, exec_lo
	s_or_b32 s21, s0, s21
	s_waitcnt vmcnt(0)
	global_store_dwordx2 v[17:18], v[15:16], off
	s_branch .LBB10_3
.LBB10_6:
	s_or_b32 exec_lo, exec_lo, s19
	s_and_saveexec_b32 s0, s13
	s_xor_b32 s0, exec_lo, s0
	s_cbranch_execz .LBB10_10
; %bb.7:
	s_mov_b32 s8, exec_lo
	v_cmpx_eq_u32_e64 v14, v2
	s_cbranch_execz .LBB10_9
; %bb.8:
	v_lshlrev_b64 v[0:1], 3, v[4:5]
	s_load_dwordx2 s[12:13], s[4:5], 0x68
	v_lshlrev_b64 v[2:3], 3, v[2:3]
	v_add_nc_u32_e32 v4, 1, v4
	v_add_co_u32 v0, vcc_lo, s16, v0
	v_add_co_ci_u32_e64 v1, null, s17, v1, vcc_lo
	global_load_dwordx2 v[0:1], v[0:1], off
	s_waitcnt lgkmcnt(0)
	v_add_co_u32 v2, vcc_lo, s12, v2
	v_add_co_ci_u32_e64 v3, null, s13, v3, vcc_lo
	s_waitcnt vmcnt(0)
	global_store_dwordx2 v[2:3], v[0:1], off
.LBB10_9:
	s_or_b32 exec_lo, exec_lo, s8
	v_mov_b32_e32 v0, v4
.LBB10_10:
	s_or_b32 exec_lo, exec_lo, s0
.LBB10_11:
	s_or_b32 exec_lo, exec_lo, s18
	v_cmp_lt_i32_e32 vcc_lo, v0, v12
	s_and_b32 exec_lo, exec_lo, vcc_lo
	s_cbranch_execz .LBB10_14
; %bb.12:
	s_load_dword s0, s[4:5], 0x60
	v_ashrrev_i32_e32 v1, 31, v0
	s_mov_b32 s4, 0
	v_lshlrev_b64 v[2:3], 2, v[0:1]
	v_lshlrev_b64 v[4:5], 3, v[0:1]
	v_add_co_u32 v1, vcc_lo, s10, v2
	v_add_co_ci_u32_e64 v2, null, s11, v3, vcc_lo
	v_add_co_u32 v3, vcc_lo, s16, v4
	v_add_co_ci_u32_e64 v4, null, s17, v5, vcc_lo
	s_waitcnt vmcnt(0) lgkmcnt(0)
	v_subrev_nc_u32_e32 v5, s0, v13
	s_sub_i32 s1, s0, s1
	s_inst_prefetch 0x1
	.p2align	6
.LBB10_13:                              ; =>This Inner Loop Header: Depth=1
	global_load_dword v9, v[1:2], off
	v_ashrrev_i32_e32 v6, 31, v5
	v_add_nc_u32_e32 v0, 1, v0
	v_lshlrev_b64 v[7:8], 2, v[5:6]
	v_add_co_u32 v7, vcc_lo, s2, v7
	v_add_co_ci_u32_e64 v8, null, s3, v8, vcc_lo
	v_add_co_u32 v1, vcc_lo, v1, 4
	v_add_co_ci_u32_e64 v2, null, 0, v2, vcc_lo
	v_cmp_ge_i32_e32 vcc_lo, v0, v12
	s_or_b32 s4, vcc_lo, s4
	s_waitcnt vmcnt(0)
	v_add_nc_u32_e32 v9, s1, v9
	global_store_dword v[7:8], v9, off
	global_load_dwordx2 v[7:8], v[3:4], off
	v_lshlrev_b64 v[9:10], 3, v[5:6]
	v_add_nc_u32_e32 v5, 1, v5
	v_add_co_u32 v9, s0, s6, v9
	v_add_co_ci_u32_e64 v10, null, s7, v10, s0
	v_add_co_u32 v3, s0, v3, 8
	v_add_co_ci_u32_e64 v4, null, 0, v4, s0
	s_waitcnt vmcnt(0)
	global_store_dwordx2 v[9:10], v[7:8], off
	s_andn2_b32 exec_lo, exec_lo, s4
	s_cbranch_execnz .LBB10_13
.LBB10_14:
	s_inst_prefetch 0x2
	s_endpgm
	.section	.rodata,"a",@progbits
	.p2align	6, 0x0
	.amdhsa_kernel _ZN9rocsparseL19csxsldu_fill_kernelILj1024EL20rocsparse_diag_type_1ELS1_1E21rocsparse_complex_numIfEiiEEvT4_PKT3_PKS4_PKT2_21rocsparse_index_base_S7_PS4_PSA_SD_S7_SE_SF_SD_SF_
		.amdhsa_group_segment_fixed_size 0
		.amdhsa_private_segment_fixed_size 0
		.amdhsa_kernarg_size 368
		.amdhsa_user_sgpr_count 6
		.amdhsa_user_sgpr_private_segment_buffer 1
		.amdhsa_user_sgpr_dispatch_ptr 0
		.amdhsa_user_sgpr_queue_ptr 0
		.amdhsa_user_sgpr_kernarg_segment_ptr 1
		.amdhsa_user_sgpr_dispatch_id 0
		.amdhsa_user_sgpr_flat_scratch_init 0
		.amdhsa_user_sgpr_private_segment_size 0
		.amdhsa_wavefront_size32 1
		.amdhsa_uses_dynamic_stack 0
		.amdhsa_system_sgpr_private_segment_wavefront_offset 0
		.amdhsa_system_sgpr_workgroup_id_x 1
		.amdhsa_system_sgpr_workgroup_id_y 0
		.amdhsa_system_sgpr_workgroup_id_z 0
		.amdhsa_system_sgpr_workgroup_info 0
		.amdhsa_system_vgpr_workitem_id 0
		.amdhsa_next_free_vgpr 19
		.amdhsa_next_free_sgpr 23
		.amdhsa_reserve_vcc 1
		.amdhsa_reserve_flat_scratch 0
		.amdhsa_float_round_mode_32 0
		.amdhsa_float_round_mode_16_64 0
		.amdhsa_float_denorm_mode_32 3
		.amdhsa_float_denorm_mode_16_64 3
		.amdhsa_dx10_clamp 1
		.amdhsa_ieee_mode 1
		.amdhsa_fp16_overflow 0
		.amdhsa_workgroup_processor_mode 1
		.amdhsa_memory_ordered 1
		.amdhsa_forward_progress 1
		.amdhsa_shared_vgpr_count 0
		.amdhsa_exception_fp_ieee_invalid_op 0
		.amdhsa_exception_fp_denorm_src 0
		.amdhsa_exception_fp_ieee_div_zero 0
		.amdhsa_exception_fp_ieee_overflow 0
		.amdhsa_exception_fp_ieee_underflow 0
		.amdhsa_exception_fp_ieee_inexact 0
		.amdhsa_exception_int_div_zero 0
	.end_amdhsa_kernel
	.section	.text._ZN9rocsparseL19csxsldu_fill_kernelILj1024EL20rocsparse_diag_type_1ELS1_1E21rocsparse_complex_numIfEiiEEvT4_PKT3_PKS4_PKT2_21rocsparse_index_base_S7_PS4_PSA_SD_S7_SE_SF_SD_SF_,"axG",@progbits,_ZN9rocsparseL19csxsldu_fill_kernelILj1024EL20rocsparse_diag_type_1ELS1_1E21rocsparse_complex_numIfEiiEEvT4_PKT3_PKS4_PKT2_21rocsparse_index_base_S7_PS4_PSA_SD_S7_SE_SF_SD_SF_,comdat
.Lfunc_end10:
	.size	_ZN9rocsparseL19csxsldu_fill_kernelILj1024EL20rocsparse_diag_type_1ELS1_1E21rocsparse_complex_numIfEiiEEvT4_PKT3_PKS4_PKT2_21rocsparse_index_base_S7_PS4_PSA_SD_S7_SE_SF_SD_SF_, .Lfunc_end10-_ZN9rocsparseL19csxsldu_fill_kernelILj1024EL20rocsparse_diag_type_1ELS1_1E21rocsparse_complex_numIfEiiEEvT4_PKT3_PKS4_PKT2_21rocsparse_index_base_S7_PS4_PSA_SD_S7_SE_SF_SD_SF_
                                        ; -- End function
	.set _ZN9rocsparseL19csxsldu_fill_kernelILj1024EL20rocsparse_diag_type_1ELS1_1E21rocsparse_complex_numIfEiiEEvT4_PKT3_PKS4_PKT2_21rocsparse_index_base_S7_PS4_PSA_SD_S7_SE_SF_SD_SF_.num_vgpr, 19
	.set _ZN9rocsparseL19csxsldu_fill_kernelILj1024EL20rocsparse_diag_type_1ELS1_1E21rocsparse_complex_numIfEiiEEvT4_PKT3_PKS4_PKT2_21rocsparse_index_base_S7_PS4_PSA_SD_S7_SE_SF_SD_SF_.num_agpr, 0
	.set _ZN9rocsparseL19csxsldu_fill_kernelILj1024EL20rocsparse_diag_type_1ELS1_1E21rocsparse_complex_numIfEiiEEvT4_PKT3_PKS4_PKT2_21rocsparse_index_base_S7_PS4_PSA_SD_S7_SE_SF_SD_SF_.numbered_sgpr, 23
	.set _ZN9rocsparseL19csxsldu_fill_kernelILj1024EL20rocsparse_diag_type_1ELS1_1E21rocsparse_complex_numIfEiiEEvT4_PKT3_PKS4_PKT2_21rocsparse_index_base_S7_PS4_PSA_SD_S7_SE_SF_SD_SF_.num_named_barrier, 0
	.set _ZN9rocsparseL19csxsldu_fill_kernelILj1024EL20rocsparse_diag_type_1ELS1_1E21rocsparse_complex_numIfEiiEEvT4_PKT3_PKS4_PKT2_21rocsparse_index_base_S7_PS4_PSA_SD_S7_SE_SF_SD_SF_.private_seg_size, 0
	.set _ZN9rocsparseL19csxsldu_fill_kernelILj1024EL20rocsparse_diag_type_1ELS1_1E21rocsparse_complex_numIfEiiEEvT4_PKT3_PKS4_PKT2_21rocsparse_index_base_S7_PS4_PSA_SD_S7_SE_SF_SD_SF_.uses_vcc, 1
	.set _ZN9rocsparseL19csxsldu_fill_kernelILj1024EL20rocsparse_diag_type_1ELS1_1E21rocsparse_complex_numIfEiiEEvT4_PKT3_PKS4_PKT2_21rocsparse_index_base_S7_PS4_PSA_SD_S7_SE_SF_SD_SF_.uses_flat_scratch, 0
	.set _ZN9rocsparseL19csxsldu_fill_kernelILj1024EL20rocsparse_diag_type_1ELS1_1E21rocsparse_complex_numIfEiiEEvT4_PKT3_PKS4_PKT2_21rocsparse_index_base_S7_PS4_PSA_SD_S7_SE_SF_SD_SF_.has_dyn_sized_stack, 0
	.set _ZN9rocsparseL19csxsldu_fill_kernelILj1024EL20rocsparse_diag_type_1ELS1_1E21rocsparse_complex_numIfEiiEEvT4_PKT3_PKS4_PKT2_21rocsparse_index_base_S7_PS4_PSA_SD_S7_SE_SF_SD_SF_.has_recursion, 0
	.set _ZN9rocsparseL19csxsldu_fill_kernelILj1024EL20rocsparse_diag_type_1ELS1_1E21rocsparse_complex_numIfEiiEEvT4_PKT3_PKS4_PKT2_21rocsparse_index_base_S7_PS4_PSA_SD_S7_SE_SF_SD_SF_.has_indirect_call, 0
	.section	.AMDGPU.csdata,"",@progbits
; Kernel info:
; codeLenInByte = 992
; TotalNumSgprs: 25
; NumVgprs: 19
; ScratchSize: 0
; MemoryBound: 0
; FloatMode: 240
; IeeeMode: 1
; LDSByteSize: 0 bytes/workgroup (compile time only)
; SGPRBlocks: 0
; VGPRBlocks: 2
; NumSGPRsForWavesPerEU: 25
; NumVGPRsForWavesPerEU: 19
; Occupancy: 16
; WaveLimiterHint : 0
; COMPUTE_PGM_RSRC2:SCRATCH_EN: 0
; COMPUTE_PGM_RSRC2:USER_SGPR: 6
; COMPUTE_PGM_RSRC2:TRAP_HANDLER: 0
; COMPUTE_PGM_RSRC2:TGID_X_EN: 1
; COMPUTE_PGM_RSRC2:TGID_Y_EN: 0
; COMPUTE_PGM_RSRC2:TGID_Z_EN: 0
; COMPUTE_PGM_RSRC2:TIDIG_COMP_CNT: 0
	.section	.text._ZN9rocsparseL19csxsldu_fill_kernelILj1024EL20rocsparse_diag_type_0ELS1_1E21rocsparse_complex_numIfEiiEEvT4_PKT3_PKS4_PKT2_21rocsparse_index_base_S7_PS4_PSA_SD_S7_SE_SF_SD_SF_,"axG",@progbits,_ZN9rocsparseL19csxsldu_fill_kernelILj1024EL20rocsparse_diag_type_0ELS1_1E21rocsparse_complex_numIfEiiEEvT4_PKT3_PKS4_PKT2_21rocsparse_index_base_S7_PS4_PSA_SD_S7_SE_SF_SD_SF_,comdat
	.globl	_ZN9rocsparseL19csxsldu_fill_kernelILj1024EL20rocsparse_diag_type_0ELS1_1E21rocsparse_complex_numIfEiiEEvT4_PKT3_PKS4_PKT2_21rocsparse_index_base_S7_PS4_PSA_SD_S7_SE_SF_SD_SF_ ; -- Begin function _ZN9rocsparseL19csxsldu_fill_kernelILj1024EL20rocsparse_diag_type_0ELS1_1E21rocsparse_complex_numIfEiiEEvT4_PKT3_PKS4_PKT2_21rocsparse_index_base_S7_PS4_PSA_SD_S7_SE_SF_SD_SF_
	.p2align	8
	.type	_ZN9rocsparseL19csxsldu_fill_kernelILj1024EL20rocsparse_diag_type_0ELS1_1E21rocsparse_complex_numIfEiiEEvT4_PKT3_PKS4_PKT2_21rocsparse_index_base_S7_PS4_PSA_SD_S7_SE_SF_SD_SF_,@function
_ZN9rocsparseL19csxsldu_fill_kernelILj1024EL20rocsparse_diag_type_0ELS1_1E21rocsparse_complex_numIfEiiEEvT4_PKT3_PKS4_PKT2_21rocsparse_index_base_S7_PS4_PSA_SD_S7_SE_SF_SD_SF_: ; @_ZN9rocsparseL19csxsldu_fill_kernelILj1024EL20rocsparse_diag_type_0ELS1_1E21rocsparse_complex_numIfEiiEEvT4_PKT3_PKS4_PKT2_21rocsparse_index_base_S7_PS4_PSA_SD_S7_SE_SF_SD_SF_
; %bb.0:
	s_clause 0x1
	s_load_dword s0, s[4:5], 0x7c
	s_load_dword s1, s[4:5], 0x0
	s_waitcnt lgkmcnt(0)
	s_and_b32 s0, s0, 0xffff
	v_mad_u64_u32 v[2:3], null, s6, s0, v[0:1]
	s_mov_b32 s0, exec_lo
	v_cmpx_gt_i32_e64 s1, v2
	s_cbranch_execz .LBB11_10
; %bb.1:
	s_clause 0x1
	s_load_dwordx4 s[8:11], s[4:5], 0x8
	s_load_dwordx4 s[0:3], s[4:5], 0x48
	v_ashrrev_i32_e32 v3, 31, v2
	s_load_dwordx2 s[16:17], s[4:5], 0x18
	s_mov_b32 s18, exec_lo
	v_lshlrev_b64 v[3:4], 2, v[2:3]
	s_waitcnt lgkmcnt(0)
	v_add_co_u32 v0, vcc_lo, s8, v3
	v_add_co_ci_u32_e64 v1, null, s9, v4, vcc_lo
	global_load_dwordx2 v[5:6], v[0:1], off
	v_add_co_u32 v0, vcc_lo, s0, v3
	v_add_co_ci_u32_e64 v1, null, s1, v4, vcc_lo
	global_load_dword v10, v[0:1], off
	s_clause 0x1
	s_load_dword s1, s[4:5], 0x20
	s_load_dwordx2 s[6:7], s[4:5], 0x58
	s_waitcnt vmcnt(1) lgkmcnt(0)
	v_subrev_nc_u32_e32 v0, s1, v5
	v_subrev_nc_u32_e32 v9, s1, v6
	v_cmpx_lt_i32_e64 v5, v6
	s_cbranch_execz .LBB11_7
; %bb.2:
	s_clause 0x1
	s_load_dwordx4 s[12:15], s[4:5], 0x28
	s_load_dwordx2 s[8:9], s[4:5], 0x38
	v_ashrrev_i32_e32 v1, 31, v0
                                        ; implicit-def: $sgpr19
	v_lshlrev_b64 v[5:6], 3, v[0:1]
	s_waitcnt lgkmcnt(0)
	v_add_co_u32 v3, vcc_lo, s12, v3
	v_add_co_ci_u32_e64 v4, null, s13, v4, vcc_lo
	s_load_dword s12, s[4:5], 0x40
	s_mov_b32 s13, 0
	global_load_dword v7, v[3:4], off
	v_lshlrev_b64 v[3:4], 2, v[0:1]
	v_add_co_u32 v3, vcc_lo, s10, v3
	v_add_co_ci_u32_e64 v4, null, s11, v4, vcc_lo
	v_add_co_u32 v5, vcc_lo, s16, v5
	v_add_co_ci_u32_e64 v6, null, s17, v6, vcc_lo
	s_waitcnt vmcnt(0) lgkmcnt(0)
	v_subrev_nc_u32_e32 v7, s12, v7
	s_inst_prefetch 0x1
	s_branch .LBB11_4
	.p2align	6
.LBB11_3:                               ;   in Loop: Header=BB11_4 Depth=1
	s_or_b32 exec_lo, exec_lo, s20
	s_and_b32 s0, exec_lo, s19
	s_or_b32 s13, s0, s13
	s_andn2_b32 exec_lo, exec_lo, s13
	s_cbranch_execz .LBB11_6
.LBB11_4:                               ; =>This Inner Loop Header: Depth=1
	global_load_dword v1, v[3:4], off
	s_or_b32 s19, s19, exec_lo
	s_mov_b32 s20, exec_lo
	s_waitcnt vmcnt(0)
	v_subrev_nc_u32_e32 v1, s1, v1
	v_cmpx_ge_i32_e64 v2, v1
	s_cbranch_execz .LBB11_3
; %bb.5:                                ;   in Loop: Header=BB11_4 Depth=1
	v_ashrrev_i32_e32 v8, 31, v7
	v_add_nc_u32_e32 v1, s12, v1
	v_add_nc_u32_e32 v0, 1, v0
	v_lshlrev_b64 v[11:12], 2, v[7:8]
	v_lshlrev_b64 v[13:14], 3, v[7:8]
	v_add_nc_u32_e32 v7, 1, v7
	v_add_co_u32 v11, vcc_lo, s14, v11
	v_add_co_ci_u32_e64 v12, null, s15, v12, vcc_lo
	v_add_co_u32 v13, vcc_lo, s8, v13
	v_add_co_ci_u32_e64 v14, null, s9, v14, vcc_lo
	global_store_dword v[11:12], v1, off
	global_load_dwordx2 v[11:12], v[5:6], off
	v_add_co_u32 v3, vcc_lo, v3, 4
	v_add_co_ci_u32_e64 v4, null, 0, v4, vcc_lo
	v_cmp_ge_i32_e32 vcc_lo, v0, v9
	v_add_co_u32 v5, s0, v5, 8
	v_add_co_ci_u32_e64 v6, null, 0, v6, s0
	s_andn2_b32 s0, s19, exec_lo
	s_and_b32 s19, vcc_lo, exec_lo
	s_or_b32 s19, s0, s19
	s_waitcnt vmcnt(0)
	global_store_dwordx2 v[13:14], v[11:12], off
	s_branch .LBB11_3
.LBB11_6:
	s_inst_prefetch 0x2
	s_or_b32 exec_lo, exec_lo, s13
.LBB11_7:
	s_or_b32 exec_lo, exec_lo, s18
	v_cmp_lt_i32_e32 vcc_lo, v0, v9
	s_and_b32 exec_lo, exec_lo, vcc_lo
	s_cbranch_execz .LBB11_10
; %bb.8:
	s_load_dword s0, s[4:5], 0x60
	v_ashrrev_i32_e32 v1, 31, v0
	s_mov_b32 s4, 0
	v_lshlrev_b64 v[2:3], 2, v[0:1]
	v_lshlrev_b64 v[4:5], 3, v[0:1]
	v_add_co_u32 v1, vcc_lo, s10, v2
	v_add_co_ci_u32_e64 v2, null, s11, v3, vcc_lo
	v_add_co_u32 v3, vcc_lo, s16, v4
	v_add_co_ci_u32_e64 v4, null, s17, v5, vcc_lo
	s_waitcnt vmcnt(0) lgkmcnt(0)
	v_subrev_nc_u32_e32 v5, s0, v10
	s_sub_i32 s1, s0, s1
	s_inst_prefetch 0x1
	.p2align	6
.LBB11_9:                               ; =>This Inner Loop Header: Depth=1
	global_load_dword v10, v[1:2], off
	v_ashrrev_i32_e32 v6, 31, v5
	v_add_nc_u32_e32 v0, 1, v0
	v_lshlrev_b64 v[7:8], 2, v[5:6]
	v_add_co_u32 v7, vcc_lo, s2, v7
	v_add_co_ci_u32_e64 v8, null, s3, v8, vcc_lo
	v_add_co_u32 v1, vcc_lo, v1, 4
	v_add_co_ci_u32_e64 v2, null, 0, v2, vcc_lo
	v_cmp_ge_i32_e32 vcc_lo, v0, v9
	s_or_b32 s4, vcc_lo, s4
	s_waitcnt vmcnt(0)
	v_add_nc_u32_e32 v10, s1, v10
	global_store_dword v[7:8], v10, off
	global_load_dwordx2 v[7:8], v[3:4], off
	v_lshlrev_b64 v[10:11], 3, v[5:6]
	v_add_nc_u32_e32 v5, 1, v5
	v_add_co_u32 v10, s0, s6, v10
	v_add_co_ci_u32_e64 v11, null, s7, v11, s0
	v_add_co_u32 v3, s0, v3, 8
	v_add_co_ci_u32_e64 v4, null, 0, v4, s0
	s_waitcnt vmcnt(0)
	global_store_dwordx2 v[10:11], v[7:8], off
	s_andn2_b32 exec_lo, exec_lo, s4
	s_cbranch_execnz .LBB11_9
.LBB11_10:
	s_inst_prefetch 0x2
	s_endpgm
	.section	.rodata,"a",@progbits
	.p2align	6, 0x0
	.amdhsa_kernel _ZN9rocsparseL19csxsldu_fill_kernelILj1024EL20rocsparse_diag_type_0ELS1_1E21rocsparse_complex_numIfEiiEEvT4_PKT3_PKS4_PKT2_21rocsparse_index_base_S7_PS4_PSA_SD_S7_SE_SF_SD_SF_
		.amdhsa_group_segment_fixed_size 0
		.amdhsa_private_segment_fixed_size 0
		.amdhsa_kernarg_size 368
		.amdhsa_user_sgpr_count 6
		.amdhsa_user_sgpr_private_segment_buffer 1
		.amdhsa_user_sgpr_dispatch_ptr 0
		.amdhsa_user_sgpr_queue_ptr 0
		.amdhsa_user_sgpr_kernarg_segment_ptr 1
		.amdhsa_user_sgpr_dispatch_id 0
		.amdhsa_user_sgpr_flat_scratch_init 0
		.amdhsa_user_sgpr_private_segment_size 0
		.amdhsa_wavefront_size32 1
		.amdhsa_uses_dynamic_stack 0
		.amdhsa_system_sgpr_private_segment_wavefront_offset 0
		.amdhsa_system_sgpr_workgroup_id_x 1
		.amdhsa_system_sgpr_workgroup_id_y 0
		.amdhsa_system_sgpr_workgroup_id_z 0
		.amdhsa_system_sgpr_workgroup_info 0
		.amdhsa_system_vgpr_workitem_id 0
		.amdhsa_next_free_vgpr 15
		.amdhsa_next_free_sgpr 21
		.amdhsa_reserve_vcc 1
		.amdhsa_reserve_flat_scratch 0
		.amdhsa_float_round_mode_32 0
		.amdhsa_float_round_mode_16_64 0
		.amdhsa_float_denorm_mode_32 3
		.amdhsa_float_denorm_mode_16_64 3
		.amdhsa_dx10_clamp 1
		.amdhsa_ieee_mode 1
		.amdhsa_fp16_overflow 0
		.amdhsa_workgroup_processor_mode 1
		.amdhsa_memory_ordered 1
		.amdhsa_forward_progress 1
		.amdhsa_shared_vgpr_count 0
		.amdhsa_exception_fp_ieee_invalid_op 0
		.amdhsa_exception_fp_denorm_src 0
		.amdhsa_exception_fp_ieee_div_zero 0
		.amdhsa_exception_fp_ieee_overflow 0
		.amdhsa_exception_fp_ieee_underflow 0
		.amdhsa_exception_fp_ieee_inexact 0
		.amdhsa_exception_int_div_zero 0
	.end_amdhsa_kernel
	.section	.text._ZN9rocsparseL19csxsldu_fill_kernelILj1024EL20rocsparse_diag_type_0ELS1_1E21rocsparse_complex_numIfEiiEEvT4_PKT3_PKS4_PKT2_21rocsparse_index_base_S7_PS4_PSA_SD_S7_SE_SF_SD_SF_,"axG",@progbits,_ZN9rocsparseL19csxsldu_fill_kernelILj1024EL20rocsparse_diag_type_0ELS1_1E21rocsparse_complex_numIfEiiEEvT4_PKT3_PKS4_PKT2_21rocsparse_index_base_S7_PS4_PSA_SD_S7_SE_SF_SD_SF_,comdat
.Lfunc_end11:
	.size	_ZN9rocsparseL19csxsldu_fill_kernelILj1024EL20rocsparse_diag_type_0ELS1_1E21rocsparse_complex_numIfEiiEEvT4_PKT3_PKS4_PKT2_21rocsparse_index_base_S7_PS4_PSA_SD_S7_SE_SF_SD_SF_, .Lfunc_end11-_ZN9rocsparseL19csxsldu_fill_kernelILj1024EL20rocsparse_diag_type_0ELS1_1E21rocsparse_complex_numIfEiiEEvT4_PKT3_PKS4_PKT2_21rocsparse_index_base_S7_PS4_PSA_SD_S7_SE_SF_SD_SF_
                                        ; -- End function
	.set _ZN9rocsparseL19csxsldu_fill_kernelILj1024EL20rocsparse_diag_type_0ELS1_1E21rocsparse_complex_numIfEiiEEvT4_PKT3_PKS4_PKT2_21rocsparse_index_base_S7_PS4_PSA_SD_S7_SE_SF_SD_SF_.num_vgpr, 15
	.set _ZN9rocsparseL19csxsldu_fill_kernelILj1024EL20rocsparse_diag_type_0ELS1_1E21rocsparse_complex_numIfEiiEEvT4_PKT3_PKS4_PKT2_21rocsparse_index_base_S7_PS4_PSA_SD_S7_SE_SF_SD_SF_.num_agpr, 0
	.set _ZN9rocsparseL19csxsldu_fill_kernelILj1024EL20rocsparse_diag_type_0ELS1_1E21rocsparse_complex_numIfEiiEEvT4_PKT3_PKS4_PKT2_21rocsparse_index_base_S7_PS4_PSA_SD_S7_SE_SF_SD_SF_.numbered_sgpr, 21
	.set _ZN9rocsparseL19csxsldu_fill_kernelILj1024EL20rocsparse_diag_type_0ELS1_1E21rocsparse_complex_numIfEiiEEvT4_PKT3_PKS4_PKT2_21rocsparse_index_base_S7_PS4_PSA_SD_S7_SE_SF_SD_SF_.num_named_barrier, 0
	.set _ZN9rocsparseL19csxsldu_fill_kernelILj1024EL20rocsparse_diag_type_0ELS1_1E21rocsparse_complex_numIfEiiEEvT4_PKT3_PKS4_PKT2_21rocsparse_index_base_S7_PS4_PSA_SD_S7_SE_SF_SD_SF_.private_seg_size, 0
	.set _ZN9rocsparseL19csxsldu_fill_kernelILj1024EL20rocsparse_diag_type_0ELS1_1E21rocsparse_complex_numIfEiiEEvT4_PKT3_PKS4_PKT2_21rocsparse_index_base_S7_PS4_PSA_SD_S7_SE_SF_SD_SF_.uses_vcc, 1
	.set _ZN9rocsparseL19csxsldu_fill_kernelILj1024EL20rocsparse_diag_type_0ELS1_1E21rocsparse_complex_numIfEiiEEvT4_PKT3_PKS4_PKT2_21rocsparse_index_base_S7_PS4_PSA_SD_S7_SE_SF_SD_SF_.uses_flat_scratch, 0
	.set _ZN9rocsparseL19csxsldu_fill_kernelILj1024EL20rocsparse_diag_type_0ELS1_1E21rocsparse_complex_numIfEiiEEvT4_PKT3_PKS4_PKT2_21rocsparse_index_base_S7_PS4_PSA_SD_S7_SE_SF_SD_SF_.has_dyn_sized_stack, 0
	.set _ZN9rocsparseL19csxsldu_fill_kernelILj1024EL20rocsparse_diag_type_0ELS1_1E21rocsparse_complex_numIfEiiEEvT4_PKT3_PKS4_PKT2_21rocsparse_index_base_S7_PS4_PSA_SD_S7_SE_SF_SD_SF_.has_recursion, 0
	.set _ZN9rocsparseL19csxsldu_fill_kernelILj1024EL20rocsparse_diag_type_0ELS1_1E21rocsparse_complex_numIfEiiEEvT4_PKT3_PKS4_PKT2_21rocsparse_index_base_S7_PS4_PSA_SD_S7_SE_SF_SD_SF_.has_indirect_call, 0
	.section	.AMDGPU.csdata,"",@progbits
; Kernel info:
; codeLenInByte = 864
; TotalNumSgprs: 23
; NumVgprs: 15
; ScratchSize: 0
; MemoryBound: 0
; FloatMode: 240
; IeeeMode: 1
; LDSByteSize: 0 bytes/workgroup (compile time only)
; SGPRBlocks: 0
; VGPRBlocks: 1
; NumSGPRsForWavesPerEU: 23
; NumVGPRsForWavesPerEU: 15
; Occupancy: 16
; WaveLimiterHint : 0
; COMPUTE_PGM_RSRC2:SCRATCH_EN: 0
; COMPUTE_PGM_RSRC2:USER_SGPR: 6
; COMPUTE_PGM_RSRC2:TRAP_HANDLER: 0
; COMPUTE_PGM_RSRC2:TGID_X_EN: 1
; COMPUTE_PGM_RSRC2:TGID_Y_EN: 0
; COMPUTE_PGM_RSRC2:TGID_Z_EN: 0
; COMPUTE_PGM_RSRC2:TIDIG_COMP_CNT: 0
	.section	.text._ZN9rocsparseL19csxsldu_fill_kernelILj1024EL20rocsparse_diag_type_1ELS1_0E21rocsparse_complex_numIdEiiEEvT4_PKT3_PKS4_PKT2_21rocsparse_index_base_S7_PS4_PSA_SD_S7_SE_SF_SD_SF_,"axG",@progbits,_ZN9rocsparseL19csxsldu_fill_kernelILj1024EL20rocsparse_diag_type_1ELS1_0E21rocsparse_complex_numIdEiiEEvT4_PKT3_PKS4_PKT2_21rocsparse_index_base_S7_PS4_PSA_SD_S7_SE_SF_SD_SF_,comdat
	.globl	_ZN9rocsparseL19csxsldu_fill_kernelILj1024EL20rocsparse_diag_type_1ELS1_0E21rocsparse_complex_numIdEiiEEvT4_PKT3_PKS4_PKT2_21rocsparse_index_base_S7_PS4_PSA_SD_S7_SE_SF_SD_SF_ ; -- Begin function _ZN9rocsparseL19csxsldu_fill_kernelILj1024EL20rocsparse_diag_type_1ELS1_0E21rocsparse_complex_numIdEiiEEvT4_PKT3_PKS4_PKT2_21rocsparse_index_base_S7_PS4_PSA_SD_S7_SE_SF_SD_SF_
	.p2align	8
	.type	_ZN9rocsparseL19csxsldu_fill_kernelILj1024EL20rocsparse_diag_type_1ELS1_0E21rocsparse_complex_numIdEiiEEvT4_PKT3_PKS4_PKT2_21rocsparse_index_base_S7_PS4_PSA_SD_S7_SE_SF_SD_SF_,@function
_ZN9rocsparseL19csxsldu_fill_kernelILj1024EL20rocsparse_diag_type_1ELS1_0E21rocsparse_complex_numIdEiiEEvT4_PKT3_PKS4_PKT2_21rocsparse_index_base_S7_PS4_PSA_SD_S7_SE_SF_SD_SF_: ; @_ZN9rocsparseL19csxsldu_fill_kernelILj1024EL20rocsparse_diag_type_1ELS1_0E21rocsparse_complex_numIdEiiEEvT4_PKT3_PKS4_PKT2_21rocsparse_index_base_S7_PS4_PSA_SD_S7_SE_SF_SD_SF_
; %bb.0:
	s_clause 0x1
	s_load_dword s0, s[4:5], 0x7c
	s_load_dword s1, s[4:5], 0x0
	s_waitcnt lgkmcnt(0)
	s_and_b32 s0, s0, 0xffff
	v_mad_u64_u32 v[2:3], null, s6, s0, v[0:1]
	s_mov_b32 s0, exec_lo
	v_cmpx_gt_i32_e64 s1, v2
	s_cbranch_execz .LBB12_10
; %bb.1:
	s_clause 0x1
	s_load_dwordx4 s[8:11], s[4:5], 0x8
	s_load_dwordx4 s[0:3], s[4:5], 0x48
	v_ashrrev_i32_e32 v3, 31, v2
	s_load_dwordx2 s[16:17], s[4:5], 0x18
	s_mov_b32 s18, exec_lo
	v_lshlrev_b64 v[3:4], 2, v[2:3]
	s_waitcnt lgkmcnt(0)
	v_add_co_u32 v0, vcc_lo, s8, v3
	v_add_co_ci_u32_e64 v1, null, s9, v4, vcc_lo
	global_load_dwordx2 v[5:6], v[0:1], off
	v_add_co_u32 v0, vcc_lo, s0, v3
	v_add_co_ci_u32_e64 v1, null, s1, v4, vcc_lo
	global_load_dword v10, v[0:1], off
	s_clause 0x1
	s_load_dword s1, s[4:5], 0x20
	s_load_dwordx2 s[6:7], s[4:5], 0x58
	s_waitcnt vmcnt(1) lgkmcnt(0)
	v_subrev_nc_u32_e32 v0, s1, v5
	v_subrev_nc_u32_e32 v9, s1, v6
	v_cmpx_lt_i32_e64 v5, v6
	s_cbranch_execz .LBB12_7
; %bb.2:
	s_clause 0x1
	s_load_dwordx4 s[12:15], s[4:5], 0x28
	s_load_dwordx2 s[8:9], s[4:5], 0x38
	v_ashrrev_i32_e32 v1, 31, v0
                                        ; implicit-def: $sgpr19
	v_lshlrev_b64 v[5:6], 4, v[0:1]
	s_waitcnt lgkmcnt(0)
	v_add_co_u32 v3, vcc_lo, s12, v3
	v_add_co_ci_u32_e64 v4, null, s13, v4, vcc_lo
	s_load_dword s12, s[4:5], 0x40
	s_mov_b32 s13, 0
	global_load_dword v7, v[3:4], off
	v_lshlrev_b64 v[3:4], 2, v[0:1]
	v_add_co_u32 v3, vcc_lo, s10, v3
	v_add_co_ci_u32_e64 v4, null, s11, v4, vcc_lo
	v_add_co_u32 v5, vcc_lo, s16, v5
	v_add_co_ci_u32_e64 v6, null, s17, v6, vcc_lo
	s_waitcnt vmcnt(0) lgkmcnt(0)
	v_subrev_nc_u32_e32 v7, s12, v7
	s_inst_prefetch 0x1
	s_branch .LBB12_4
	.p2align	6
.LBB12_3:                               ;   in Loop: Header=BB12_4 Depth=1
	s_or_b32 exec_lo, exec_lo, s20
	s_and_b32 s0, exec_lo, s19
	s_or_b32 s13, s0, s13
	s_andn2_b32 exec_lo, exec_lo, s13
	s_cbranch_execz .LBB12_6
.LBB12_4:                               ; =>This Inner Loop Header: Depth=1
	global_load_dword v1, v[3:4], off
	s_or_b32 s19, s19, exec_lo
	s_mov_b32 s20, exec_lo
	s_waitcnt vmcnt(0)
	v_subrev_nc_u32_e32 v1, s1, v1
	v_cmpx_gt_i32_e64 v2, v1
	s_cbranch_execz .LBB12_3
; %bb.5:                                ;   in Loop: Header=BB12_4 Depth=1
	v_ashrrev_i32_e32 v8, 31, v7
	v_add_nc_u32_e32 v1, s12, v1
	v_add_nc_u32_e32 v0, 1, v0
	v_lshlrev_b64 v[11:12], 2, v[7:8]
	v_lshlrev_b64 v[15:16], 4, v[7:8]
	v_add_nc_u32_e32 v7, 1, v7
	v_add_co_u32 v11, vcc_lo, s14, v11
	v_add_co_ci_u32_e64 v12, null, s15, v12, vcc_lo
	v_add_co_u32 v15, vcc_lo, s8, v15
	v_add_co_ci_u32_e64 v16, null, s9, v16, vcc_lo
	global_store_dword v[11:12], v1, off
	global_load_dwordx4 v[11:14], v[5:6], off
	v_add_co_u32 v3, vcc_lo, v3, 4
	v_add_co_ci_u32_e64 v4, null, 0, v4, vcc_lo
	v_cmp_ge_i32_e32 vcc_lo, v0, v9
	v_add_co_u32 v5, s0, v5, 16
	v_add_co_ci_u32_e64 v6, null, 0, v6, s0
	s_andn2_b32 s0, s19, exec_lo
	s_and_b32 s19, vcc_lo, exec_lo
	s_or_b32 s19, s0, s19
	s_waitcnt vmcnt(0)
	global_store_dwordx4 v[15:16], v[11:14], off
	s_branch .LBB12_3
.LBB12_6:
	s_inst_prefetch 0x2
	s_or_b32 exec_lo, exec_lo, s13
.LBB12_7:
	s_or_b32 exec_lo, exec_lo, s18
	v_cmp_lt_i32_e32 vcc_lo, v0, v9
	s_and_b32 exec_lo, exec_lo, vcc_lo
	s_cbranch_execz .LBB12_10
; %bb.8:
	s_load_dword s0, s[4:5], 0x60
	v_ashrrev_i32_e32 v1, 31, v0
	s_mov_b32 s4, 0
	v_lshlrev_b64 v[2:3], 2, v[0:1]
	v_lshlrev_b64 v[4:5], 4, v[0:1]
	v_add_co_u32 v1, vcc_lo, s10, v2
	v_add_co_ci_u32_e64 v2, null, s11, v3, vcc_lo
	v_add_co_u32 v3, vcc_lo, s16, v4
	v_add_co_ci_u32_e64 v4, null, s17, v5, vcc_lo
	s_waitcnt vmcnt(0) lgkmcnt(0)
	v_subrev_nc_u32_e32 v5, s0, v10
	s_sub_i32 s1, s0, s1
	s_inst_prefetch 0x1
	.p2align	6
.LBB12_9:                               ; =>This Inner Loop Header: Depth=1
	global_load_dword v10, v[1:2], off
	v_ashrrev_i32_e32 v6, 31, v5
	v_add_nc_u32_e32 v0, 1, v0
	v_lshlrev_b64 v[7:8], 2, v[5:6]
	v_add_co_u32 v7, vcc_lo, s2, v7
	v_add_co_ci_u32_e64 v8, null, s3, v8, vcc_lo
	v_add_co_u32 v1, vcc_lo, v1, 4
	v_add_co_ci_u32_e64 v2, null, 0, v2, vcc_lo
	v_cmp_ge_i32_e32 vcc_lo, v0, v9
	s_or_b32 s4, vcc_lo, s4
	s_waitcnt vmcnt(0)
	v_add_nc_u32_e32 v10, s1, v10
	global_store_dword v[7:8], v10, off
	global_load_dwordx4 v[10:13], v[3:4], off
	v_lshlrev_b64 v[6:7], 4, v[5:6]
	v_add_nc_u32_e32 v5, 1, v5
	v_add_co_u32 v6, s0, s6, v6
	v_add_co_ci_u32_e64 v7, null, s7, v7, s0
	v_add_co_u32 v3, s0, v3, 16
	v_add_co_ci_u32_e64 v4, null, 0, v4, s0
	s_waitcnt vmcnt(0)
	global_store_dwordx4 v[6:7], v[10:13], off
	s_andn2_b32 exec_lo, exec_lo, s4
	s_cbranch_execnz .LBB12_9
.LBB12_10:
	s_inst_prefetch 0x2
	s_endpgm
	.section	.rodata,"a",@progbits
	.p2align	6, 0x0
	.amdhsa_kernel _ZN9rocsparseL19csxsldu_fill_kernelILj1024EL20rocsparse_diag_type_1ELS1_0E21rocsparse_complex_numIdEiiEEvT4_PKT3_PKS4_PKT2_21rocsparse_index_base_S7_PS4_PSA_SD_S7_SE_SF_SD_SF_
		.amdhsa_group_segment_fixed_size 0
		.amdhsa_private_segment_fixed_size 0
		.amdhsa_kernarg_size 368
		.amdhsa_user_sgpr_count 6
		.amdhsa_user_sgpr_private_segment_buffer 1
		.amdhsa_user_sgpr_dispatch_ptr 0
		.amdhsa_user_sgpr_queue_ptr 0
		.amdhsa_user_sgpr_kernarg_segment_ptr 1
		.amdhsa_user_sgpr_dispatch_id 0
		.amdhsa_user_sgpr_flat_scratch_init 0
		.amdhsa_user_sgpr_private_segment_size 0
		.amdhsa_wavefront_size32 1
		.amdhsa_uses_dynamic_stack 0
		.amdhsa_system_sgpr_private_segment_wavefront_offset 0
		.amdhsa_system_sgpr_workgroup_id_x 1
		.amdhsa_system_sgpr_workgroup_id_y 0
		.amdhsa_system_sgpr_workgroup_id_z 0
		.amdhsa_system_sgpr_workgroup_info 0
		.amdhsa_system_vgpr_workitem_id 0
		.amdhsa_next_free_vgpr 17
		.amdhsa_next_free_sgpr 21
		.amdhsa_reserve_vcc 1
		.amdhsa_reserve_flat_scratch 0
		.amdhsa_float_round_mode_32 0
		.amdhsa_float_round_mode_16_64 0
		.amdhsa_float_denorm_mode_32 3
		.amdhsa_float_denorm_mode_16_64 3
		.amdhsa_dx10_clamp 1
		.amdhsa_ieee_mode 1
		.amdhsa_fp16_overflow 0
		.amdhsa_workgroup_processor_mode 1
		.amdhsa_memory_ordered 1
		.amdhsa_forward_progress 1
		.amdhsa_shared_vgpr_count 0
		.amdhsa_exception_fp_ieee_invalid_op 0
		.amdhsa_exception_fp_denorm_src 0
		.amdhsa_exception_fp_ieee_div_zero 0
		.amdhsa_exception_fp_ieee_overflow 0
		.amdhsa_exception_fp_ieee_underflow 0
		.amdhsa_exception_fp_ieee_inexact 0
		.amdhsa_exception_int_div_zero 0
	.end_amdhsa_kernel
	.section	.text._ZN9rocsparseL19csxsldu_fill_kernelILj1024EL20rocsparse_diag_type_1ELS1_0E21rocsparse_complex_numIdEiiEEvT4_PKT3_PKS4_PKT2_21rocsparse_index_base_S7_PS4_PSA_SD_S7_SE_SF_SD_SF_,"axG",@progbits,_ZN9rocsparseL19csxsldu_fill_kernelILj1024EL20rocsparse_diag_type_1ELS1_0E21rocsparse_complex_numIdEiiEEvT4_PKT3_PKS4_PKT2_21rocsparse_index_base_S7_PS4_PSA_SD_S7_SE_SF_SD_SF_,comdat
.Lfunc_end12:
	.size	_ZN9rocsparseL19csxsldu_fill_kernelILj1024EL20rocsparse_diag_type_1ELS1_0E21rocsparse_complex_numIdEiiEEvT4_PKT3_PKS4_PKT2_21rocsparse_index_base_S7_PS4_PSA_SD_S7_SE_SF_SD_SF_, .Lfunc_end12-_ZN9rocsparseL19csxsldu_fill_kernelILj1024EL20rocsparse_diag_type_1ELS1_0E21rocsparse_complex_numIdEiiEEvT4_PKT3_PKS4_PKT2_21rocsparse_index_base_S7_PS4_PSA_SD_S7_SE_SF_SD_SF_
                                        ; -- End function
	.set _ZN9rocsparseL19csxsldu_fill_kernelILj1024EL20rocsparse_diag_type_1ELS1_0E21rocsparse_complex_numIdEiiEEvT4_PKT3_PKS4_PKT2_21rocsparse_index_base_S7_PS4_PSA_SD_S7_SE_SF_SD_SF_.num_vgpr, 17
	.set _ZN9rocsparseL19csxsldu_fill_kernelILj1024EL20rocsparse_diag_type_1ELS1_0E21rocsparse_complex_numIdEiiEEvT4_PKT3_PKS4_PKT2_21rocsparse_index_base_S7_PS4_PSA_SD_S7_SE_SF_SD_SF_.num_agpr, 0
	.set _ZN9rocsparseL19csxsldu_fill_kernelILj1024EL20rocsparse_diag_type_1ELS1_0E21rocsparse_complex_numIdEiiEEvT4_PKT3_PKS4_PKT2_21rocsparse_index_base_S7_PS4_PSA_SD_S7_SE_SF_SD_SF_.numbered_sgpr, 21
	.set _ZN9rocsparseL19csxsldu_fill_kernelILj1024EL20rocsparse_diag_type_1ELS1_0E21rocsparse_complex_numIdEiiEEvT4_PKT3_PKS4_PKT2_21rocsparse_index_base_S7_PS4_PSA_SD_S7_SE_SF_SD_SF_.num_named_barrier, 0
	.set _ZN9rocsparseL19csxsldu_fill_kernelILj1024EL20rocsparse_diag_type_1ELS1_0E21rocsparse_complex_numIdEiiEEvT4_PKT3_PKS4_PKT2_21rocsparse_index_base_S7_PS4_PSA_SD_S7_SE_SF_SD_SF_.private_seg_size, 0
	.set _ZN9rocsparseL19csxsldu_fill_kernelILj1024EL20rocsparse_diag_type_1ELS1_0E21rocsparse_complex_numIdEiiEEvT4_PKT3_PKS4_PKT2_21rocsparse_index_base_S7_PS4_PSA_SD_S7_SE_SF_SD_SF_.uses_vcc, 1
	.set _ZN9rocsparseL19csxsldu_fill_kernelILj1024EL20rocsparse_diag_type_1ELS1_0E21rocsparse_complex_numIdEiiEEvT4_PKT3_PKS4_PKT2_21rocsparse_index_base_S7_PS4_PSA_SD_S7_SE_SF_SD_SF_.uses_flat_scratch, 0
	.set _ZN9rocsparseL19csxsldu_fill_kernelILj1024EL20rocsparse_diag_type_1ELS1_0E21rocsparse_complex_numIdEiiEEvT4_PKT3_PKS4_PKT2_21rocsparse_index_base_S7_PS4_PSA_SD_S7_SE_SF_SD_SF_.has_dyn_sized_stack, 0
	.set _ZN9rocsparseL19csxsldu_fill_kernelILj1024EL20rocsparse_diag_type_1ELS1_0E21rocsparse_complex_numIdEiiEEvT4_PKT3_PKS4_PKT2_21rocsparse_index_base_S7_PS4_PSA_SD_S7_SE_SF_SD_SF_.has_recursion, 0
	.set _ZN9rocsparseL19csxsldu_fill_kernelILj1024EL20rocsparse_diag_type_1ELS1_0E21rocsparse_complex_numIdEiiEEvT4_PKT3_PKS4_PKT2_21rocsparse_index_base_S7_PS4_PSA_SD_S7_SE_SF_SD_SF_.has_indirect_call, 0
	.section	.AMDGPU.csdata,"",@progbits
; Kernel info:
; codeLenInByte = 864
; TotalNumSgprs: 23
; NumVgprs: 17
; ScratchSize: 0
; MemoryBound: 0
; FloatMode: 240
; IeeeMode: 1
; LDSByteSize: 0 bytes/workgroup (compile time only)
; SGPRBlocks: 0
; VGPRBlocks: 2
; NumSGPRsForWavesPerEU: 23
; NumVGPRsForWavesPerEU: 17
; Occupancy: 16
; WaveLimiterHint : 0
; COMPUTE_PGM_RSRC2:SCRATCH_EN: 0
; COMPUTE_PGM_RSRC2:USER_SGPR: 6
; COMPUTE_PGM_RSRC2:TRAP_HANDLER: 0
; COMPUTE_PGM_RSRC2:TGID_X_EN: 1
; COMPUTE_PGM_RSRC2:TGID_Y_EN: 0
; COMPUTE_PGM_RSRC2:TGID_Z_EN: 0
; COMPUTE_PGM_RSRC2:TIDIG_COMP_CNT: 0
	.section	.text._ZN9rocsparseL19csxsldu_fill_kernelILj1024EL20rocsparse_diag_type_1ELS1_1E21rocsparse_complex_numIdEiiEEvT4_PKT3_PKS4_PKT2_21rocsparse_index_base_S7_PS4_PSA_SD_S7_SE_SF_SD_SF_,"axG",@progbits,_ZN9rocsparseL19csxsldu_fill_kernelILj1024EL20rocsparse_diag_type_1ELS1_1E21rocsparse_complex_numIdEiiEEvT4_PKT3_PKS4_PKT2_21rocsparse_index_base_S7_PS4_PSA_SD_S7_SE_SF_SD_SF_,comdat
	.globl	_ZN9rocsparseL19csxsldu_fill_kernelILj1024EL20rocsparse_diag_type_1ELS1_1E21rocsparse_complex_numIdEiiEEvT4_PKT3_PKS4_PKT2_21rocsparse_index_base_S7_PS4_PSA_SD_S7_SE_SF_SD_SF_ ; -- Begin function _ZN9rocsparseL19csxsldu_fill_kernelILj1024EL20rocsparse_diag_type_1ELS1_1E21rocsparse_complex_numIdEiiEEvT4_PKT3_PKS4_PKT2_21rocsparse_index_base_S7_PS4_PSA_SD_S7_SE_SF_SD_SF_
	.p2align	8
	.type	_ZN9rocsparseL19csxsldu_fill_kernelILj1024EL20rocsparse_diag_type_1ELS1_1E21rocsparse_complex_numIdEiiEEvT4_PKT3_PKS4_PKT2_21rocsparse_index_base_S7_PS4_PSA_SD_S7_SE_SF_SD_SF_,@function
_ZN9rocsparseL19csxsldu_fill_kernelILj1024EL20rocsparse_diag_type_1ELS1_1E21rocsparse_complex_numIdEiiEEvT4_PKT3_PKS4_PKT2_21rocsparse_index_base_S7_PS4_PSA_SD_S7_SE_SF_SD_SF_: ; @_ZN9rocsparseL19csxsldu_fill_kernelILj1024EL20rocsparse_diag_type_1ELS1_1E21rocsparse_complex_numIdEiiEEvT4_PKT3_PKS4_PKT2_21rocsparse_index_base_S7_PS4_PSA_SD_S7_SE_SF_SD_SF_
; %bb.0:
	s_clause 0x1
	s_load_dword s0, s[4:5], 0x7c
	s_load_dword s1, s[4:5], 0x0
	s_waitcnt lgkmcnt(0)
	s_and_b32 s0, s0, 0xffff
	v_mad_u64_u32 v[2:3], null, s6, s0, v[0:1]
	s_mov_b32 s0, exec_lo
	v_cmpx_gt_i32_e64 s1, v2
	s_cbranch_execz .LBB13_14
; %bb.1:
	s_clause 0x1
	s_load_dwordx4 s[8:11], s[4:5], 0x8
	s_load_dwordx4 s[0:3], s[4:5], 0x48
	v_ashrrev_i32_e32 v3, 31, v2
	s_load_dwordx2 s[16:17], s[4:5], 0x18
	s_mov_b32 s18, exec_lo
	v_lshlrev_b64 v[4:5], 2, v[2:3]
	s_waitcnt lgkmcnt(0)
	v_add_co_u32 v0, vcc_lo, s8, v4
	v_add_co_ci_u32_e64 v1, null, s9, v5, vcc_lo
	global_load_dwordx2 v[6:7], v[0:1], off
	v_add_co_u32 v0, vcc_lo, s0, v4
	v_add_co_ci_u32_e64 v1, null, s1, v5, vcc_lo
	global_load_dword v13, v[0:1], off
	s_clause 0x1
	s_load_dword s1, s[4:5], 0x20
	s_load_dwordx2 s[6:7], s[4:5], 0x58
	s_waitcnt vmcnt(1) lgkmcnt(0)
	v_subrev_nc_u32_e32 v0, s1, v6
	v_subrev_nc_u32_e32 v12, s1, v7
	v_cmpx_lt_i32_e64 v6, v7
	s_cbranch_execz .LBB13_11
; %bb.2:
	s_clause 0x1
	s_load_dwordx4 s[12:15], s[4:5], 0x28
	s_load_dwordx2 s[8:9], s[4:5], 0x38
	v_ashrrev_i32_e32 v1, 31, v0
	s_mov_b32 s19, 0
                                        ; implicit-def: $sgpr21
                                        ; implicit-def: $sgpr20
	v_lshlrev_b64 v[8:9], 4, v[0:1]
	s_waitcnt lgkmcnt(0)
	v_add_co_u32 v4, vcc_lo, s12, v4
	v_add_co_ci_u32_e64 v5, null, s13, v5, vcc_lo
	s_load_dword s12, s[4:5], 0x40
                                        ; implicit-def: $sgpr13
	global_load_dword v10, v[4:5], off
	v_lshlrev_b64 v[4:5], 2, v[0:1]
	v_add_co_u32 v6, vcc_lo, s10, v4
	v_add_co_ci_u32_e64 v7, null, s11, v5, vcc_lo
	v_add_co_u32 v8, vcc_lo, s16, v8
	v_add_co_ci_u32_e64 v9, null, s17, v9, vcc_lo
	s_waitcnt vmcnt(0) lgkmcnt(0)
	v_subrev_nc_u32_e32 v10, s12, v10
	s_branch .LBB13_4
.LBB13_3:                               ;   in Loop: Header=BB13_4 Depth=1
	s_or_b32 exec_lo, exec_lo, s22
	s_and_b32 s0, exec_lo, s21
	s_or_b32 s19, s0, s19
	s_andn2_b32 s0, s13, exec_lo
	s_and_b32 s13, s20, exec_lo
	s_or_b32 s13, s0, s13
	s_andn2_b32 exec_lo, exec_lo, s19
	s_cbranch_execz .LBB13_6
.LBB13_4:                               ; =>This Inner Loop Header: Depth=1
	global_load_dword v4, v[6:7], off
	s_or_b32 s20, s20, exec_lo
	s_or_b32 s21, s21, exec_lo
	s_mov_b32 s22, exec_lo
	s_waitcnt vmcnt(0)
	v_subrev_nc_u32_e32 v14, s1, v4
	v_mov_b32_e32 v5, v1
	v_mov_b32_e32 v4, v0
                                        ; implicit-def: $vgpr0_vgpr1
	v_cmpx_gt_i32_e64 v2, v14
	s_cbranch_execz .LBB13_3
; %bb.5:                                ;   in Loop: Header=BB13_4 Depth=1
	v_ashrrev_i32_e32 v11, 31, v10
	v_add_nc_u32_e32 v15, s12, v14
	s_andn2_b32 s20, s20, exec_lo
	v_lshlrev_b64 v[0:1], 2, v[10:11]
	v_add_co_u32 v0, vcc_lo, s14, v0
	v_add_co_ci_u32_e64 v1, null, s15, v1, vcc_lo
	global_store_dword v[0:1], v15, off
	global_load_dwordx4 v[15:18], v[8:9], off
	v_lshlrev_b64 v[0:1], 4, v[10:11]
	v_add_co_u32 v8, s0, v8, 16
	v_add_co_ci_u32_e64 v9, null, 0, v9, s0
	v_add_nc_u32_e32 v10, 1, v10
	v_add_co_u32 v19, vcc_lo, s8, v0
	v_add_co_ci_u32_e64 v20, null, s9, v1, vcc_lo
	v_add_co_u32 v0, vcc_lo, v4, 1
	v_add_co_ci_u32_e64 v1, null, 0, v5, vcc_lo
	;; [unrolled: 2-line block ×3, first 2 shown]
	v_cmp_ge_i32_e32 vcc_lo, v0, v12
	s_andn2_b32 s0, s21, exec_lo
	s_and_b32 s21, vcc_lo, exec_lo
	s_or_b32 s21, s0, s21
	s_waitcnt vmcnt(0)
	global_store_dwordx4 v[19:20], v[15:18], off
	s_branch .LBB13_3
.LBB13_6:
	s_or_b32 exec_lo, exec_lo, s19
	s_and_saveexec_b32 s0, s13
	s_xor_b32 s0, exec_lo, s0
	s_cbranch_execz .LBB13_10
; %bb.7:
	s_mov_b32 s8, exec_lo
	v_cmpx_eq_u32_e64 v14, v2
	s_cbranch_execz .LBB13_9
; %bb.8:
	v_lshlrev_b64 v[0:1], 4, v[4:5]
	s_load_dwordx2 s[12:13], s[4:5], 0x68
	v_add_nc_u32_e32 v4, 1, v4
	v_add_co_u32 v0, vcc_lo, s16, v0
	v_add_co_ci_u32_e64 v1, null, s17, v1, vcc_lo
	global_load_dwordx4 v[5:8], v[0:1], off
	v_lshlrev_b64 v[0:1], 4, v[2:3]
	s_waitcnt lgkmcnt(0)
	v_add_co_u32 v0, vcc_lo, s12, v0
	v_add_co_ci_u32_e64 v1, null, s13, v1, vcc_lo
	s_waitcnt vmcnt(0)
	global_store_dwordx4 v[0:1], v[5:8], off
.LBB13_9:
	s_or_b32 exec_lo, exec_lo, s8
	v_mov_b32_e32 v0, v4
.LBB13_10:
	s_or_b32 exec_lo, exec_lo, s0
.LBB13_11:
	s_or_b32 exec_lo, exec_lo, s18
	v_cmp_lt_i32_e32 vcc_lo, v0, v12
	s_and_b32 exec_lo, exec_lo, vcc_lo
	s_cbranch_execz .LBB13_14
; %bb.12:
	s_load_dword s0, s[4:5], 0x60
	v_ashrrev_i32_e32 v1, 31, v0
	s_mov_b32 s4, 0
	v_lshlrev_b64 v[2:3], 2, v[0:1]
	v_lshlrev_b64 v[4:5], 4, v[0:1]
	v_add_co_u32 v1, vcc_lo, s10, v2
	v_add_co_ci_u32_e64 v2, null, s11, v3, vcc_lo
	v_add_co_u32 v3, vcc_lo, s16, v4
	v_add_co_ci_u32_e64 v4, null, s17, v5, vcc_lo
	s_waitcnt vmcnt(0) lgkmcnt(0)
	v_subrev_nc_u32_e32 v5, s0, v13
	s_sub_i32 s1, s0, s1
	s_inst_prefetch 0x1
	.p2align	6
.LBB13_13:                              ; =>This Inner Loop Header: Depth=1
	global_load_dword v9, v[1:2], off
	v_ashrrev_i32_e32 v6, 31, v5
	v_add_nc_u32_e32 v0, 1, v0
	v_lshlrev_b64 v[7:8], 2, v[5:6]
	v_lshlrev_b64 v[13:14], 4, v[5:6]
	v_add_nc_u32_e32 v5, 1, v5
	v_add_co_u32 v7, vcc_lo, s2, v7
	v_add_co_ci_u32_e64 v8, null, s3, v8, vcc_lo
	v_add_co_u32 v1, vcc_lo, v1, 4
	v_add_co_u32 v13, s0, s6, v13
	v_add_co_ci_u32_e64 v2, null, 0, v2, vcc_lo
	v_cmp_ge_i32_e32 vcc_lo, v0, v12
	v_add_co_ci_u32_e64 v14, null, s7, v14, s0
	s_or_b32 s4, vcc_lo, s4
	s_waitcnt vmcnt(0)
	v_add_nc_u32_e32 v9, s1, v9
	global_store_dword v[7:8], v9, off
	global_load_dwordx4 v[7:10], v[3:4], off
	v_add_co_u32 v3, s0, v3, 16
	v_add_co_ci_u32_e64 v4, null, 0, v4, s0
	s_waitcnt vmcnt(0)
	global_store_dwordx4 v[13:14], v[7:10], off
	s_andn2_b32 exec_lo, exec_lo, s4
	s_cbranch_execnz .LBB13_13
.LBB13_14:
	s_inst_prefetch 0x2
	s_endpgm
	.section	.rodata,"a",@progbits
	.p2align	6, 0x0
	.amdhsa_kernel _ZN9rocsparseL19csxsldu_fill_kernelILj1024EL20rocsparse_diag_type_1ELS1_1E21rocsparse_complex_numIdEiiEEvT4_PKT3_PKS4_PKT2_21rocsparse_index_base_S7_PS4_PSA_SD_S7_SE_SF_SD_SF_
		.amdhsa_group_segment_fixed_size 0
		.amdhsa_private_segment_fixed_size 0
		.amdhsa_kernarg_size 368
		.amdhsa_user_sgpr_count 6
		.amdhsa_user_sgpr_private_segment_buffer 1
		.amdhsa_user_sgpr_dispatch_ptr 0
		.amdhsa_user_sgpr_queue_ptr 0
		.amdhsa_user_sgpr_kernarg_segment_ptr 1
		.amdhsa_user_sgpr_dispatch_id 0
		.amdhsa_user_sgpr_flat_scratch_init 0
		.amdhsa_user_sgpr_private_segment_size 0
		.amdhsa_wavefront_size32 1
		.amdhsa_uses_dynamic_stack 0
		.amdhsa_system_sgpr_private_segment_wavefront_offset 0
		.amdhsa_system_sgpr_workgroup_id_x 1
		.amdhsa_system_sgpr_workgroup_id_y 0
		.amdhsa_system_sgpr_workgroup_id_z 0
		.amdhsa_system_sgpr_workgroup_info 0
		.amdhsa_system_vgpr_workitem_id 0
		.amdhsa_next_free_vgpr 21
		.amdhsa_next_free_sgpr 23
		.amdhsa_reserve_vcc 1
		.amdhsa_reserve_flat_scratch 0
		.amdhsa_float_round_mode_32 0
		.amdhsa_float_round_mode_16_64 0
		.amdhsa_float_denorm_mode_32 3
		.amdhsa_float_denorm_mode_16_64 3
		.amdhsa_dx10_clamp 1
		.amdhsa_ieee_mode 1
		.amdhsa_fp16_overflow 0
		.amdhsa_workgroup_processor_mode 1
		.amdhsa_memory_ordered 1
		.amdhsa_forward_progress 1
		.amdhsa_shared_vgpr_count 0
		.amdhsa_exception_fp_ieee_invalid_op 0
		.amdhsa_exception_fp_denorm_src 0
		.amdhsa_exception_fp_ieee_div_zero 0
		.amdhsa_exception_fp_ieee_overflow 0
		.amdhsa_exception_fp_ieee_underflow 0
		.amdhsa_exception_fp_ieee_inexact 0
		.amdhsa_exception_int_div_zero 0
	.end_amdhsa_kernel
	.section	.text._ZN9rocsparseL19csxsldu_fill_kernelILj1024EL20rocsparse_diag_type_1ELS1_1E21rocsparse_complex_numIdEiiEEvT4_PKT3_PKS4_PKT2_21rocsparse_index_base_S7_PS4_PSA_SD_S7_SE_SF_SD_SF_,"axG",@progbits,_ZN9rocsparseL19csxsldu_fill_kernelILj1024EL20rocsparse_diag_type_1ELS1_1E21rocsparse_complex_numIdEiiEEvT4_PKT3_PKS4_PKT2_21rocsparse_index_base_S7_PS4_PSA_SD_S7_SE_SF_SD_SF_,comdat
.Lfunc_end13:
	.size	_ZN9rocsparseL19csxsldu_fill_kernelILj1024EL20rocsparse_diag_type_1ELS1_1E21rocsparse_complex_numIdEiiEEvT4_PKT3_PKS4_PKT2_21rocsparse_index_base_S7_PS4_PSA_SD_S7_SE_SF_SD_SF_, .Lfunc_end13-_ZN9rocsparseL19csxsldu_fill_kernelILj1024EL20rocsparse_diag_type_1ELS1_1E21rocsparse_complex_numIdEiiEEvT4_PKT3_PKS4_PKT2_21rocsparse_index_base_S7_PS4_PSA_SD_S7_SE_SF_SD_SF_
                                        ; -- End function
	.set _ZN9rocsparseL19csxsldu_fill_kernelILj1024EL20rocsparse_diag_type_1ELS1_1E21rocsparse_complex_numIdEiiEEvT4_PKT3_PKS4_PKT2_21rocsparse_index_base_S7_PS4_PSA_SD_S7_SE_SF_SD_SF_.num_vgpr, 21
	.set _ZN9rocsparseL19csxsldu_fill_kernelILj1024EL20rocsparse_diag_type_1ELS1_1E21rocsparse_complex_numIdEiiEEvT4_PKT3_PKS4_PKT2_21rocsparse_index_base_S7_PS4_PSA_SD_S7_SE_SF_SD_SF_.num_agpr, 0
	.set _ZN9rocsparseL19csxsldu_fill_kernelILj1024EL20rocsparse_diag_type_1ELS1_1E21rocsparse_complex_numIdEiiEEvT4_PKT3_PKS4_PKT2_21rocsparse_index_base_S7_PS4_PSA_SD_S7_SE_SF_SD_SF_.numbered_sgpr, 23
	.set _ZN9rocsparseL19csxsldu_fill_kernelILj1024EL20rocsparse_diag_type_1ELS1_1E21rocsparse_complex_numIdEiiEEvT4_PKT3_PKS4_PKT2_21rocsparse_index_base_S7_PS4_PSA_SD_S7_SE_SF_SD_SF_.num_named_barrier, 0
	.set _ZN9rocsparseL19csxsldu_fill_kernelILj1024EL20rocsparse_diag_type_1ELS1_1E21rocsparse_complex_numIdEiiEEvT4_PKT3_PKS4_PKT2_21rocsparse_index_base_S7_PS4_PSA_SD_S7_SE_SF_SD_SF_.private_seg_size, 0
	.set _ZN9rocsparseL19csxsldu_fill_kernelILj1024EL20rocsparse_diag_type_1ELS1_1E21rocsparse_complex_numIdEiiEEvT4_PKT3_PKS4_PKT2_21rocsparse_index_base_S7_PS4_PSA_SD_S7_SE_SF_SD_SF_.uses_vcc, 1
	.set _ZN9rocsparseL19csxsldu_fill_kernelILj1024EL20rocsparse_diag_type_1ELS1_1E21rocsparse_complex_numIdEiiEEvT4_PKT3_PKS4_PKT2_21rocsparse_index_base_S7_PS4_PSA_SD_S7_SE_SF_SD_SF_.uses_flat_scratch, 0
	.set _ZN9rocsparseL19csxsldu_fill_kernelILj1024EL20rocsparse_diag_type_1ELS1_1E21rocsparse_complex_numIdEiiEEvT4_PKT3_PKS4_PKT2_21rocsparse_index_base_S7_PS4_PSA_SD_S7_SE_SF_SD_SF_.has_dyn_sized_stack, 0
	.set _ZN9rocsparseL19csxsldu_fill_kernelILj1024EL20rocsparse_diag_type_1ELS1_1E21rocsparse_complex_numIdEiiEEvT4_PKT3_PKS4_PKT2_21rocsparse_index_base_S7_PS4_PSA_SD_S7_SE_SF_SD_SF_.has_recursion, 0
	.set _ZN9rocsparseL19csxsldu_fill_kernelILj1024EL20rocsparse_diag_type_1ELS1_1E21rocsparse_complex_numIdEiiEEvT4_PKT3_PKS4_PKT2_21rocsparse_index_base_S7_PS4_PSA_SD_S7_SE_SF_SD_SF_.has_indirect_call, 0
	.section	.AMDGPU.csdata,"",@progbits
; Kernel info:
; codeLenInByte = 992
; TotalNumSgprs: 25
; NumVgprs: 21
; ScratchSize: 0
; MemoryBound: 0
; FloatMode: 240
; IeeeMode: 1
; LDSByteSize: 0 bytes/workgroup (compile time only)
; SGPRBlocks: 0
; VGPRBlocks: 2
; NumSGPRsForWavesPerEU: 25
; NumVGPRsForWavesPerEU: 21
; Occupancy: 16
; WaveLimiterHint : 0
; COMPUTE_PGM_RSRC2:SCRATCH_EN: 0
; COMPUTE_PGM_RSRC2:USER_SGPR: 6
; COMPUTE_PGM_RSRC2:TRAP_HANDLER: 0
; COMPUTE_PGM_RSRC2:TGID_X_EN: 1
; COMPUTE_PGM_RSRC2:TGID_Y_EN: 0
; COMPUTE_PGM_RSRC2:TGID_Z_EN: 0
; COMPUTE_PGM_RSRC2:TIDIG_COMP_CNT: 0
	.section	.text._ZN9rocsparseL19csxsldu_fill_kernelILj1024EL20rocsparse_diag_type_0ELS1_1E21rocsparse_complex_numIdEiiEEvT4_PKT3_PKS4_PKT2_21rocsparse_index_base_S7_PS4_PSA_SD_S7_SE_SF_SD_SF_,"axG",@progbits,_ZN9rocsparseL19csxsldu_fill_kernelILj1024EL20rocsparse_diag_type_0ELS1_1E21rocsparse_complex_numIdEiiEEvT4_PKT3_PKS4_PKT2_21rocsparse_index_base_S7_PS4_PSA_SD_S7_SE_SF_SD_SF_,comdat
	.globl	_ZN9rocsparseL19csxsldu_fill_kernelILj1024EL20rocsparse_diag_type_0ELS1_1E21rocsparse_complex_numIdEiiEEvT4_PKT3_PKS4_PKT2_21rocsparse_index_base_S7_PS4_PSA_SD_S7_SE_SF_SD_SF_ ; -- Begin function _ZN9rocsparseL19csxsldu_fill_kernelILj1024EL20rocsparse_diag_type_0ELS1_1E21rocsparse_complex_numIdEiiEEvT4_PKT3_PKS4_PKT2_21rocsparse_index_base_S7_PS4_PSA_SD_S7_SE_SF_SD_SF_
	.p2align	8
	.type	_ZN9rocsparseL19csxsldu_fill_kernelILj1024EL20rocsparse_diag_type_0ELS1_1E21rocsparse_complex_numIdEiiEEvT4_PKT3_PKS4_PKT2_21rocsparse_index_base_S7_PS4_PSA_SD_S7_SE_SF_SD_SF_,@function
_ZN9rocsparseL19csxsldu_fill_kernelILj1024EL20rocsparse_diag_type_0ELS1_1E21rocsparse_complex_numIdEiiEEvT4_PKT3_PKS4_PKT2_21rocsparse_index_base_S7_PS4_PSA_SD_S7_SE_SF_SD_SF_: ; @_ZN9rocsparseL19csxsldu_fill_kernelILj1024EL20rocsparse_diag_type_0ELS1_1E21rocsparse_complex_numIdEiiEEvT4_PKT3_PKS4_PKT2_21rocsparse_index_base_S7_PS4_PSA_SD_S7_SE_SF_SD_SF_
; %bb.0:
	s_clause 0x1
	s_load_dword s0, s[4:5], 0x7c
	s_load_dword s1, s[4:5], 0x0
	s_waitcnt lgkmcnt(0)
	s_and_b32 s0, s0, 0xffff
	v_mad_u64_u32 v[2:3], null, s6, s0, v[0:1]
	s_mov_b32 s0, exec_lo
	v_cmpx_gt_i32_e64 s1, v2
	s_cbranch_execz .LBB14_10
; %bb.1:
	s_clause 0x1
	s_load_dwordx4 s[8:11], s[4:5], 0x8
	s_load_dwordx4 s[0:3], s[4:5], 0x48
	v_ashrrev_i32_e32 v3, 31, v2
	s_load_dwordx2 s[16:17], s[4:5], 0x18
	s_mov_b32 s18, exec_lo
	v_lshlrev_b64 v[3:4], 2, v[2:3]
	s_waitcnt lgkmcnt(0)
	v_add_co_u32 v0, vcc_lo, s8, v3
	v_add_co_ci_u32_e64 v1, null, s9, v4, vcc_lo
	global_load_dwordx2 v[5:6], v[0:1], off
	v_add_co_u32 v0, vcc_lo, s0, v3
	v_add_co_ci_u32_e64 v1, null, s1, v4, vcc_lo
	global_load_dword v10, v[0:1], off
	s_clause 0x1
	s_load_dword s1, s[4:5], 0x20
	s_load_dwordx2 s[6:7], s[4:5], 0x58
	s_waitcnt vmcnt(1) lgkmcnt(0)
	v_subrev_nc_u32_e32 v0, s1, v5
	v_subrev_nc_u32_e32 v9, s1, v6
	v_cmpx_lt_i32_e64 v5, v6
	s_cbranch_execz .LBB14_7
; %bb.2:
	s_clause 0x1
	s_load_dwordx4 s[12:15], s[4:5], 0x28
	s_load_dwordx2 s[8:9], s[4:5], 0x38
	v_ashrrev_i32_e32 v1, 31, v0
                                        ; implicit-def: $sgpr19
	v_lshlrev_b64 v[5:6], 4, v[0:1]
	s_waitcnt lgkmcnt(0)
	v_add_co_u32 v3, vcc_lo, s12, v3
	v_add_co_ci_u32_e64 v4, null, s13, v4, vcc_lo
	s_load_dword s12, s[4:5], 0x40
	s_mov_b32 s13, 0
	global_load_dword v7, v[3:4], off
	v_lshlrev_b64 v[3:4], 2, v[0:1]
	v_add_co_u32 v3, vcc_lo, s10, v3
	v_add_co_ci_u32_e64 v4, null, s11, v4, vcc_lo
	v_add_co_u32 v5, vcc_lo, s16, v5
	v_add_co_ci_u32_e64 v6, null, s17, v6, vcc_lo
	s_waitcnt vmcnt(0) lgkmcnt(0)
	v_subrev_nc_u32_e32 v7, s12, v7
	s_inst_prefetch 0x1
	s_branch .LBB14_4
	.p2align	6
.LBB14_3:                               ;   in Loop: Header=BB14_4 Depth=1
	s_or_b32 exec_lo, exec_lo, s20
	s_and_b32 s0, exec_lo, s19
	s_or_b32 s13, s0, s13
	s_andn2_b32 exec_lo, exec_lo, s13
	s_cbranch_execz .LBB14_6
.LBB14_4:                               ; =>This Inner Loop Header: Depth=1
	global_load_dword v1, v[3:4], off
	s_or_b32 s19, s19, exec_lo
	s_mov_b32 s20, exec_lo
	s_waitcnt vmcnt(0)
	v_subrev_nc_u32_e32 v1, s1, v1
	v_cmpx_ge_i32_e64 v2, v1
	s_cbranch_execz .LBB14_3
; %bb.5:                                ;   in Loop: Header=BB14_4 Depth=1
	v_ashrrev_i32_e32 v8, 31, v7
	v_add_nc_u32_e32 v1, s12, v1
	v_add_nc_u32_e32 v0, 1, v0
	v_lshlrev_b64 v[11:12], 2, v[7:8]
	v_lshlrev_b64 v[15:16], 4, v[7:8]
	v_add_nc_u32_e32 v7, 1, v7
	v_add_co_u32 v11, vcc_lo, s14, v11
	v_add_co_ci_u32_e64 v12, null, s15, v12, vcc_lo
	v_add_co_u32 v15, vcc_lo, s8, v15
	v_add_co_ci_u32_e64 v16, null, s9, v16, vcc_lo
	global_store_dword v[11:12], v1, off
	global_load_dwordx4 v[11:14], v[5:6], off
	v_add_co_u32 v3, vcc_lo, v3, 4
	v_add_co_ci_u32_e64 v4, null, 0, v4, vcc_lo
	v_cmp_ge_i32_e32 vcc_lo, v0, v9
	v_add_co_u32 v5, s0, v5, 16
	v_add_co_ci_u32_e64 v6, null, 0, v6, s0
	s_andn2_b32 s0, s19, exec_lo
	s_and_b32 s19, vcc_lo, exec_lo
	s_or_b32 s19, s0, s19
	s_waitcnt vmcnt(0)
	global_store_dwordx4 v[15:16], v[11:14], off
	s_branch .LBB14_3
.LBB14_6:
	s_inst_prefetch 0x2
	s_or_b32 exec_lo, exec_lo, s13
.LBB14_7:
	s_or_b32 exec_lo, exec_lo, s18
	v_cmp_lt_i32_e32 vcc_lo, v0, v9
	s_and_b32 exec_lo, exec_lo, vcc_lo
	s_cbranch_execz .LBB14_10
; %bb.8:
	s_load_dword s0, s[4:5], 0x60
	v_ashrrev_i32_e32 v1, 31, v0
	s_mov_b32 s4, 0
	v_lshlrev_b64 v[2:3], 2, v[0:1]
	v_lshlrev_b64 v[4:5], 4, v[0:1]
	v_add_co_u32 v1, vcc_lo, s10, v2
	v_add_co_ci_u32_e64 v2, null, s11, v3, vcc_lo
	v_add_co_u32 v3, vcc_lo, s16, v4
	v_add_co_ci_u32_e64 v4, null, s17, v5, vcc_lo
	s_waitcnt vmcnt(0) lgkmcnt(0)
	v_subrev_nc_u32_e32 v5, s0, v10
	s_sub_i32 s1, s0, s1
	s_inst_prefetch 0x1
	.p2align	6
.LBB14_9:                               ; =>This Inner Loop Header: Depth=1
	global_load_dword v10, v[1:2], off
	v_ashrrev_i32_e32 v6, 31, v5
	v_add_nc_u32_e32 v0, 1, v0
	v_lshlrev_b64 v[7:8], 2, v[5:6]
	v_add_co_u32 v7, vcc_lo, s2, v7
	v_add_co_ci_u32_e64 v8, null, s3, v8, vcc_lo
	v_add_co_u32 v1, vcc_lo, v1, 4
	v_add_co_ci_u32_e64 v2, null, 0, v2, vcc_lo
	v_cmp_ge_i32_e32 vcc_lo, v0, v9
	s_or_b32 s4, vcc_lo, s4
	s_waitcnt vmcnt(0)
	v_add_nc_u32_e32 v10, s1, v10
	global_store_dword v[7:8], v10, off
	global_load_dwordx4 v[10:13], v[3:4], off
	v_lshlrev_b64 v[6:7], 4, v[5:6]
	v_add_nc_u32_e32 v5, 1, v5
	v_add_co_u32 v6, s0, s6, v6
	v_add_co_ci_u32_e64 v7, null, s7, v7, s0
	v_add_co_u32 v3, s0, v3, 16
	v_add_co_ci_u32_e64 v4, null, 0, v4, s0
	s_waitcnt vmcnt(0)
	global_store_dwordx4 v[6:7], v[10:13], off
	s_andn2_b32 exec_lo, exec_lo, s4
	s_cbranch_execnz .LBB14_9
.LBB14_10:
	s_inst_prefetch 0x2
	s_endpgm
	.section	.rodata,"a",@progbits
	.p2align	6, 0x0
	.amdhsa_kernel _ZN9rocsparseL19csxsldu_fill_kernelILj1024EL20rocsparse_diag_type_0ELS1_1E21rocsparse_complex_numIdEiiEEvT4_PKT3_PKS4_PKT2_21rocsparse_index_base_S7_PS4_PSA_SD_S7_SE_SF_SD_SF_
		.amdhsa_group_segment_fixed_size 0
		.amdhsa_private_segment_fixed_size 0
		.amdhsa_kernarg_size 368
		.amdhsa_user_sgpr_count 6
		.amdhsa_user_sgpr_private_segment_buffer 1
		.amdhsa_user_sgpr_dispatch_ptr 0
		.amdhsa_user_sgpr_queue_ptr 0
		.amdhsa_user_sgpr_kernarg_segment_ptr 1
		.amdhsa_user_sgpr_dispatch_id 0
		.amdhsa_user_sgpr_flat_scratch_init 0
		.amdhsa_user_sgpr_private_segment_size 0
		.amdhsa_wavefront_size32 1
		.amdhsa_uses_dynamic_stack 0
		.amdhsa_system_sgpr_private_segment_wavefront_offset 0
		.amdhsa_system_sgpr_workgroup_id_x 1
		.amdhsa_system_sgpr_workgroup_id_y 0
		.amdhsa_system_sgpr_workgroup_id_z 0
		.amdhsa_system_sgpr_workgroup_info 0
		.amdhsa_system_vgpr_workitem_id 0
		.amdhsa_next_free_vgpr 17
		.amdhsa_next_free_sgpr 21
		.amdhsa_reserve_vcc 1
		.amdhsa_reserve_flat_scratch 0
		.amdhsa_float_round_mode_32 0
		.amdhsa_float_round_mode_16_64 0
		.amdhsa_float_denorm_mode_32 3
		.amdhsa_float_denorm_mode_16_64 3
		.amdhsa_dx10_clamp 1
		.amdhsa_ieee_mode 1
		.amdhsa_fp16_overflow 0
		.amdhsa_workgroup_processor_mode 1
		.amdhsa_memory_ordered 1
		.amdhsa_forward_progress 1
		.amdhsa_shared_vgpr_count 0
		.amdhsa_exception_fp_ieee_invalid_op 0
		.amdhsa_exception_fp_denorm_src 0
		.amdhsa_exception_fp_ieee_div_zero 0
		.amdhsa_exception_fp_ieee_overflow 0
		.amdhsa_exception_fp_ieee_underflow 0
		.amdhsa_exception_fp_ieee_inexact 0
		.amdhsa_exception_int_div_zero 0
	.end_amdhsa_kernel
	.section	.text._ZN9rocsparseL19csxsldu_fill_kernelILj1024EL20rocsparse_diag_type_0ELS1_1E21rocsparse_complex_numIdEiiEEvT4_PKT3_PKS4_PKT2_21rocsparse_index_base_S7_PS4_PSA_SD_S7_SE_SF_SD_SF_,"axG",@progbits,_ZN9rocsparseL19csxsldu_fill_kernelILj1024EL20rocsparse_diag_type_0ELS1_1E21rocsparse_complex_numIdEiiEEvT4_PKT3_PKS4_PKT2_21rocsparse_index_base_S7_PS4_PSA_SD_S7_SE_SF_SD_SF_,comdat
.Lfunc_end14:
	.size	_ZN9rocsparseL19csxsldu_fill_kernelILj1024EL20rocsparse_diag_type_0ELS1_1E21rocsparse_complex_numIdEiiEEvT4_PKT3_PKS4_PKT2_21rocsparse_index_base_S7_PS4_PSA_SD_S7_SE_SF_SD_SF_, .Lfunc_end14-_ZN9rocsparseL19csxsldu_fill_kernelILj1024EL20rocsparse_diag_type_0ELS1_1E21rocsparse_complex_numIdEiiEEvT4_PKT3_PKS4_PKT2_21rocsparse_index_base_S7_PS4_PSA_SD_S7_SE_SF_SD_SF_
                                        ; -- End function
	.set _ZN9rocsparseL19csxsldu_fill_kernelILj1024EL20rocsparse_diag_type_0ELS1_1E21rocsparse_complex_numIdEiiEEvT4_PKT3_PKS4_PKT2_21rocsparse_index_base_S7_PS4_PSA_SD_S7_SE_SF_SD_SF_.num_vgpr, 17
	.set _ZN9rocsparseL19csxsldu_fill_kernelILj1024EL20rocsparse_diag_type_0ELS1_1E21rocsparse_complex_numIdEiiEEvT4_PKT3_PKS4_PKT2_21rocsparse_index_base_S7_PS4_PSA_SD_S7_SE_SF_SD_SF_.num_agpr, 0
	.set _ZN9rocsparseL19csxsldu_fill_kernelILj1024EL20rocsparse_diag_type_0ELS1_1E21rocsparse_complex_numIdEiiEEvT4_PKT3_PKS4_PKT2_21rocsparse_index_base_S7_PS4_PSA_SD_S7_SE_SF_SD_SF_.numbered_sgpr, 21
	.set _ZN9rocsparseL19csxsldu_fill_kernelILj1024EL20rocsparse_diag_type_0ELS1_1E21rocsparse_complex_numIdEiiEEvT4_PKT3_PKS4_PKT2_21rocsparse_index_base_S7_PS4_PSA_SD_S7_SE_SF_SD_SF_.num_named_barrier, 0
	.set _ZN9rocsparseL19csxsldu_fill_kernelILj1024EL20rocsparse_diag_type_0ELS1_1E21rocsparse_complex_numIdEiiEEvT4_PKT3_PKS4_PKT2_21rocsparse_index_base_S7_PS4_PSA_SD_S7_SE_SF_SD_SF_.private_seg_size, 0
	.set _ZN9rocsparseL19csxsldu_fill_kernelILj1024EL20rocsparse_diag_type_0ELS1_1E21rocsparse_complex_numIdEiiEEvT4_PKT3_PKS4_PKT2_21rocsparse_index_base_S7_PS4_PSA_SD_S7_SE_SF_SD_SF_.uses_vcc, 1
	.set _ZN9rocsparseL19csxsldu_fill_kernelILj1024EL20rocsparse_diag_type_0ELS1_1E21rocsparse_complex_numIdEiiEEvT4_PKT3_PKS4_PKT2_21rocsparse_index_base_S7_PS4_PSA_SD_S7_SE_SF_SD_SF_.uses_flat_scratch, 0
	.set _ZN9rocsparseL19csxsldu_fill_kernelILj1024EL20rocsparse_diag_type_0ELS1_1E21rocsparse_complex_numIdEiiEEvT4_PKT3_PKS4_PKT2_21rocsparse_index_base_S7_PS4_PSA_SD_S7_SE_SF_SD_SF_.has_dyn_sized_stack, 0
	.set _ZN9rocsparseL19csxsldu_fill_kernelILj1024EL20rocsparse_diag_type_0ELS1_1E21rocsparse_complex_numIdEiiEEvT4_PKT3_PKS4_PKT2_21rocsparse_index_base_S7_PS4_PSA_SD_S7_SE_SF_SD_SF_.has_recursion, 0
	.set _ZN9rocsparseL19csxsldu_fill_kernelILj1024EL20rocsparse_diag_type_0ELS1_1E21rocsparse_complex_numIdEiiEEvT4_PKT3_PKS4_PKT2_21rocsparse_index_base_S7_PS4_PSA_SD_S7_SE_SF_SD_SF_.has_indirect_call, 0
	.section	.AMDGPU.csdata,"",@progbits
; Kernel info:
; codeLenInByte = 864
; TotalNumSgprs: 23
; NumVgprs: 17
; ScratchSize: 0
; MemoryBound: 0
; FloatMode: 240
; IeeeMode: 1
; LDSByteSize: 0 bytes/workgroup (compile time only)
; SGPRBlocks: 0
; VGPRBlocks: 2
; NumSGPRsForWavesPerEU: 23
; NumVGPRsForWavesPerEU: 17
; Occupancy: 16
; WaveLimiterHint : 0
; COMPUTE_PGM_RSRC2:SCRATCH_EN: 0
; COMPUTE_PGM_RSRC2:USER_SGPR: 6
; COMPUTE_PGM_RSRC2:TRAP_HANDLER: 0
; COMPUTE_PGM_RSRC2:TGID_X_EN: 1
; COMPUTE_PGM_RSRC2:TGID_Y_EN: 0
; COMPUTE_PGM_RSRC2:TGID_Z_EN: 0
; COMPUTE_PGM_RSRC2:TIDIG_COMP_CNT: 0
	.section	.AMDGPU.gpr_maximums,"",@progbits
	.set amdgpu.max_num_vgpr, 0
	.set amdgpu.max_num_agpr, 0
	.set amdgpu.max_num_sgpr, 0
	.section	.AMDGPU.csdata,"",@progbits
	.type	__hip_cuid_3325d7c0471c05c1,@object ; @__hip_cuid_3325d7c0471c05c1
	.section	.bss,"aw",@nobits
	.globl	__hip_cuid_3325d7c0471c05c1
__hip_cuid_3325d7c0471c05c1:
	.byte	0                               ; 0x0
	.size	__hip_cuid_3325d7c0471c05c1, 1

	.ident	"AMD clang version 22.0.0git (https://github.com/RadeonOpenCompute/llvm-project roc-7.2.4 26084 f58b06dce1f9c15707c5f808fd002e18c2accf7e)"
	.section	".note.GNU-stack","",@progbits
	.addrsig
	.addrsig_sym __hip_cuid_3325d7c0471c05c1
	.amdgpu_metadata
---
amdhsa.kernels:
  - .args:
      - .offset:         0
        .size:           4
        .value_kind:     by_value
      - .address_space:  global
        .offset:         8
        .size:           8
        .value_kind:     global_buffer
      - .address_space:  global
        .offset:         16
        .size:           8
        .value_kind:     global_buffer
      - .address_space:  global
        .offset:         24
        .size:           8
        .value_kind:     global_buffer
      - .offset:         32
        .size:           4
        .value_kind:     by_value
      - .address_space:  global
        .offset:         40
        .size:           8
        .value_kind:     global_buffer
      - .address_space:  global
        .offset:         48
        .size:           8
        .value_kind:     global_buffer
      - .address_space:  global
        .offset:         56
        .size:           8
        .value_kind:     global_buffer
      - .offset:         64
        .size:           4
        .value_kind:     by_value
      - .address_space:  global
        .offset:         72
        .size:           8
        .value_kind:     global_buffer
      - .address_space:  global
        .offset:         80
        .size:           8
        .value_kind:     global_buffer
      - .address_space:  global
        .offset:         88
        .size:           8
        .value_kind:     global_buffer
      - .offset:         96
        .size:           4
        .value_kind:     by_value
      - .address_space:  global
        .offset:         104
        .size:           8
        .value_kind:     global_buffer
      - .offset:         112
        .size:           4
        .value_kind:     hidden_block_count_x
      - .offset:         116
        .size:           4
        .value_kind:     hidden_block_count_y
      - .offset:         120
        .size:           4
        .value_kind:     hidden_block_count_z
      - .offset:         124
        .size:           2
        .value_kind:     hidden_group_size_x
      - .offset:         126
        .size:           2
        .value_kind:     hidden_group_size_y
      - .offset:         128
        .size:           2
        .value_kind:     hidden_group_size_z
      - .offset:         130
        .size:           2
        .value_kind:     hidden_remainder_x
      - .offset:         132
        .size:           2
        .value_kind:     hidden_remainder_y
      - .offset:         134
        .size:           2
        .value_kind:     hidden_remainder_z
      - .offset:         152
        .size:           8
        .value_kind:     hidden_global_offset_x
      - .offset:         160
        .size:           8
        .value_kind:     hidden_global_offset_y
      - .offset:         168
        .size:           8
        .value_kind:     hidden_global_offset_z
      - .offset:         176
        .size:           2
        .value_kind:     hidden_grid_dims
    .group_segment_fixed_size: 0
    .kernarg_segment_align: 8
    .kernarg_segment_size: 368
    .language:       OpenCL C
    .language_version:
      - 2
      - 0
    .max_flat_workgroup_size: 1024
    .name:           _ZN9rocsparseL19csxsldu_fill_kernelILj1024EL20rocsparse_diag_type_1ELS1_0EiiiEEvT4_PKT3_PKS2_PKT2_21rocsparse_index_base_S5_PS2_PS8_SB_S5_SC_SD_SB_SD_
    .private_segment_fixed_size: 0
    .sgpr_count:     23
    .sgpr_spill_count: 0
    .symbol:         _ZN9rocsparseL19csxsldu_fill_kernelILj1024EL20rocsparse_diag_type_1ELS1_0EiiiEEvT4_PKT3_PKS2_PKT2_21rocsparse_index_base_S5_PS2_PS8_SB_S5_SC_SD_SB_SD_.kd
    .uniform_work_group_size: 1
    .uses_dynamic_stack: false
    .vgpr_count:     15
    .vgpr_spill_count: 0
    .wavefront_size: 32
    .workgroup_processor_mode: 1
  - .args:
      - .offset:         0
        .size:           4
        .value_kind:     by_value
      - .address_space:  global
        .offset:         8
        .size:           8
        .value_kind:     global_buffer
      - .address_space:  global
        .offset:         16
        .size:           8
        .value_kind:     global_buffer
      - .address_space:  global
        .offset:         24
        .size:           8
        .value_kind:     global_buffer
      - .offset:         32
        .size:           4
        .value_kind:     by_value
      - .address_space:  global
        .offset:         40
        .size:           8
        .value_kind:     global_buffer
      - .address_space:  global
        .offset:         48
        .size:           8
        .value_kind:     global_buffer
      - .address_space:  global
        .offset:         56
        .size:           8
        .value_kind:     global_buffer
      - .offset:         64
        .size:           4
        .value_kind:     by_value
      - .address_space:  global
        .offset:         72
        .size:           8
        .value_kind:     global_buffer
      - .address_space:  global
        .offset:         80
        .size:           8
        .value_kind:     global_buffer
      - .address_space:  global
        .offset:         88
        .size:           8
        .value_kind:     global_buffer
      - .offset:         96
        .size:           4
        .value_kind:     by_value
      - .address_space:  global
        .offset:         104
        .size:           8
        .value_kind:     global_buffer
      - .offset:         112
        .size:           4
        .value_kind:     hidden_block_count_x
      - .offset:         116
        .size:           4
        .value_kind:     hidden_block_count_y
      - .offset:         120
        .size:           4
        .value_kind:     hidden_block_count_z
      - .offset:         124
        .size:           2
        .value_kind:     hidden_group_size_x
      - .offset:         126
        .size:           2
        .value_kind:     hidden_group_size_y
      - .offset:         128
        .size:           2
        .value_kind:     hidden_group_size_z
      - .offset:         130
        .size:           2
        .value_kind:     hidden_remainder_x
      - .offset:         132
        .size:           2
        .value_kind:     hidden_remainder_y
      - .offset:         134
        .size:           2
        .value_kind:     hidden_remainder_z
      - .offset:         152
        .size:           8
        .value_kind:     hidden_global_offset_x
      - .offset:         160
        .size:           8
        .value_kind:     hidden_global_offset_y
      - .offset:         168
        .size:           8
        .value_kind:     hidden_global_offset_z
      - .offset:         176
        .size:           2
        .value_kind:     hidden_grid_dims
    .group_segment_fixed_size: 0
    .kernarg_segment_align: 8
    .kernarg_segment_size: 368
    .language:       OpenCL C
    .language_version:
      - 2
      - 0
    .max_flat_workgroup_size: 1024
    .name:           _ZN9rocsparseL19csxsldu_fill_kernelILj1024EL20rocsparse_diag_type_1ELS1_1EiiiEEvT4_PKT3_PKS2_PKT2_21rocsparse_index_base_S5_PS2_PS8_SB_S5_SC_SD_SB_SD_
    .private_segment_fixed_size: 0
    .sgpr_count:     25
    .sgpr_spill_count: 0
    .symbol:         _ZN9rocsparseL19csxsldu_fill_kernelILj1024EL20rocsparse_diag_type_1ELS1_1EiiiEEvT4_PKT3_PKS2_PKT2_21rocsparse_index_base_S5_PS2_PS8_SB_S5_SC_SD_SB_SD_.kd
    .uniform_work_group_size: 1
    .uses_dynamic_stack: false
    .vgpr_count:     18
    .vgpr_spill_count: 0
    .wavefront_size: 32
    .workgroup_processor_mode: 1
  - .args:
      - .offset:         0
        .size:           4
        .value_kind:     by_value
      - .address_space:  global
        .offset:         8
        .size:           8
        .value_kind:     global_buffer
      - .address_space:  global
        .offset:         16
        .size:           8
        .value_kind:     global_buffer
      - .address_space:  global
        .offset:         24
        .size:           8
        .value_kind:     global_buffer
      - .offset:         32
        .size:           4
        .value_kind:     by_value
      - .address_space:  global
        .offset:         40
        .size:           8
        .value_kind:     global_buffer
      - .address_space:  global
        .offset:         48
        .size:           8
        .value_kind:     global_buffer
      - .address_space:  global
        .offset:         56
        .size:           8
        .value_kind:     global_buffer
      - .offset:         64
        .size:           4
        .value_kind:     by_value
      - .address_space:  global
        .offset:         72
        .size:           8
        .value_kind:     global_buffer
      - .address_space:  global
        .offset:         80
        .size:           8
        .value_kind:     global_buffer
      - .address_space:  global
        .offset:         88
        .size:           8
        .value_kind:     global_buffer
      - .offset:         96
        .size:           4
        .value_kind:     by_value
      - .address_space:  global
        .offset:         104
        .size:           8
        .value_kind:     global_buffer
      - .offset:         112
        .size:           4
        .value_kind:     hidden_block_count_x
      - .offset:         116
        .size:           4
        .value_kind:     hidden_block_count_y
      - .offset:         120
        .size:           4
        .value_kind:     hidden_block_count_z
      - .offset:         124
        .size:           2
        .value_kind:     hidden_group_size_x
      - .offset:         126
        .size:           2
        .value_kind:     hidden_group_size_y
      - .offset:         128
        .size:           2
        .value_kind:     hidden_group_size_z
      - .offset:         130
        .size:           2
        .value_kind:     hidden_remainder_x
      - .offset:         132
        .size:           2
        .value_kind:     hidden_remainder_y
      - .offset:         134
        .size:           2
        .value_kind:     hidden_remainder_z
      - .offset:         152
        .size:           8
        .value_kind:     hidden_global_offset_x
      - .offset:         160
        .size:           8
        .value_kind:     hidden_global_offset_y
      - .offset:         168
        .size:           8
        .value_kind:     hidden_global_offset_z
      - .offset:         176
        .size:           2
        .value_kind:     hidden_grid_dims
    .group_segment_fixed_size: 0
    .kernarg_segment_align: 8
    .kernarg_segment_size: 368
    .language:       OpenCL C
    .language_version:
      - 2
      - 0
    .max_flat_workgroup_size: 1024
    .name:           _ZN9rocsparseL19csxsldu_fill_kernelILj1024EL20rocsparse_diag_type_0ELS1_1EiiiEEvT4_PKT3_PKS2_PKT2_21rocsparse_index_base_S5_PS2_PS8_SB_S5_SC_SD_SB_SD_
    .private_segment_fixed_size: 0
    .sgpr_count:     23
    .sgpr_spill_count: 0
    .symbol:         _ZN9rocsparseL19csxsldu_fill_kernelILj1024EL20rocsparse_diag_type_0ELS1_1EiiiEEvT4_PKT3_PKS2_PKT2_21rocsparse_index_base_S5_PS2_PS8_SB_S5_SC_SD_SB_SD_.kd
    .uniform_work_group_size: 1
    .uses_dynamic_stack: false
    .vgpr_count:     15
    .vgpr_spill_count: 0
    .wavefront_size: 32
    .workgroup_processor_mode: 1
  - .args:
      - .offset:         0
        .size:           4
        .value_kind:     by_value
      - .address_space:  global
        .offset:         8
        .size:           8
        .value_kind:     global_buffer
      - .address_space:  global
        .offset:         16
        .size:           8
        .value_kind:     global_buffer
      - .address_space:  global
        .offset:         24
        .size:           8
        .value_kind:     global_buffer
      - .offset:         32
        .size:           4
        .value_kind:     by_value
      - .address_space:  global
        .offset:         40
        .size:           8
        .value_kind:     global_buffer
      - .address_space:  global
        .offset:         48
        .size:           8
        .value_kind:     global_buffer
      - .address_space:  global
        .offset:         56
        .size:           8
        .value_kind:     global_buffer
      - .offset:         64
        .size:           4
        .value_kind:     by_value
      - .address_space:  global
        .offset:         72
        .size:           8
        .value_kind:     global_buffer
      - .address_space:  global
        .offset:         80
        .size:           8
        .value_kind:     global_buffer
      - .address_space:  global
        .offset:         88
        .size:           8
        .value_kind:     global_buffer
      - .offset:         96
        .size:           4
        .value_kind:     by_value
      - .address_space:  global
        .offset:         104
        .size:           8
        .value_kind:     global_buffer
      - .offset:         112
        .size:           4
        .value_kind:     hidden_block_count_x
      - .offset:         116
        .size:           4
        .value_kind:     hidden_block_count_y
      - .offset:         120
        .size:           4
        .value_kind:     hidden_block_count_z
      - .offset:         124
        .size:           2
        .value_kind:     hidden_group_size_x
      - .offset:         126
        .size:           2
        .value_kind:     hidden_group_size_y
      - .offset:         128
        .size:           2
        .value_kind:     hidden_group_size_z
      - .offset:         130
        .size:           2
        .value_kind:     hidden_remainder_x
      - .offset:         132
        .size:           2
        .value_kind:     hidden_remainder_y
      - .offset:         134
        .size:           2
        .value_kind:     hidden_remainder_z
      - .offset:         152
        .size:           8
        .value_kind:     hidden_global_offset_x
      - .offset:         160
        .size:           8
        .value_kind:     hidden_global_offset_y
      - .offset:         168
        .size:           8
        .value_kind:     hidden_global_offset_z
      - .offset:         176
        .size:           2
        .value_kind:     hidden_grid_dims
    .group_segment_fixed_size: 0
    .kernarg_segment_align: 8
    .kernarg_segment_size: 368
    .language:       OpenCL C
    .language_version:
      - 2
      - 0
    .max_flat_workgroup_size: 1024
    .name:           _ZN9rocsparseL19csxsldu_fill_kernelILj1024EL20rocsparse_diag_type_1ELS1_0EfiiEEvT4_PKT3_PKS2_PKT2_21rocsparse_index_base_S5_PS2_PS8_SB_S5_SC_SD_SB_SD_
    .private_segment_fixed_size: 0
    .sgpr_count:     23
    .sgpr_spill_count: 0
    .symbol:         _ZN9rocsparseL19csxsldu_fill_kernelILj1024EL20rocsparse_diag_type_1ELS1_0EfiiEEvT4_PKT3_PKS2_PKT2_21rocsparse_index_base_S5_PS2_PS8_SB_S5_SC_SD_SB_SD_.kd
    .uniform_work_group_size: 1
    .uses_dynamic_stack: false
    .vgpr_count:     16
    .vgpr_spill_count: 0
    .wavefront_size: 32
    .workgroup_processor_mode: 1
  - .args:
      - .offset:         0
        .size:           4
        .value_kind:     by_value
      - .address_space:  global
        .offset:         8
        .size:           8
        .value_kind:     global_buffer
      - .address_space:  global
        .offset:         16
        .size:           8
        .value_kind:     global_buffer
      - .address_space:  global
        .offset:         24
        .size:           8
        .value_kind:     global_buffer
      - .offset:         32
        .size:           4
        .value_kind:     by_value
      - .address_space:  global
        .offset:         40
        .size:           8
        .value_kind:     global_buffer
      - .address_space:  global
        .offset:         48
        .size:           8
        .value_kind:     global_buffer
      - .address_space:  global
        .offset:         56
        .size:           8
        .value_kind:     global_buffer
      - .offset:         64
        .size:           4
        .value_kind:     by_value
      - .address_space:  global
        .offset:         72
        .size:           8
        .value_kind:     global_buffer
      - .address_space:  global
        .offset:         80
        .size:           8
        .value_kind:     global_buffer
      - .address_space:  global
        .offset:         88
        .size:           8
        .value_kind:     global_buffer
      - .offset:         96
        .size:           4
        .value_kind:     by_value
      - .address_space:  global
        .offset:         104
        .size:           8
        .value_kind:     global_buffer
      - .offset:         112
        .size:           4
        .value_kind:     hidden_block_count_x
      - .offset:         116
        .size:           4
        .value_kind:     hidden_block_count_y
      - .offset:         120
        .size:           4
        .value_kind:     hidden_block_count_z
      - .offset:         124
        .size:           2
        .value_kind:     hidden_group_size_x
      - .offset:         126
        .size:           2
        .value_kind:     hidden_group_size_y
      - .offset:         128
        .size:           2
        .value_kind:     hidden_group_size_z
      - .offset:         130
        .size:           2
        .value_kind:     hidden_remainder_x
      - .offset:         132
        .size:           2
        .value_kind:     hidden_remainder_y
      - .offset:         134
        .size:           2
        .value_kind:     hidden_remainder_z
      - .offset:         152
        .size:           8
        .value_kind:     hidden_global_offset_x
      - .offset:         160
        .size:           8
        .value_kind:     hidden_global_offset_y
      - .offset:         168
        .size:           8
        .value_kind:     hidden_global_offset_z
      - .offset:         176
        .size:           2
        .value_kind:     hidden_grid_dims
    .group_segment_fixed_size: 0
    .kernarg_segment_align: 8
    .kernarg_segment_size: 368
    .language:       OpenCL C
    .language_version:
      - 2
      - 0
    .max_flat_workgroup_size: 1024
    .name:           _ZN9rocsparseL19csxsldu_fill_kernelILj1024EL20rocsparse_diag_type_1ELS1_1EfiiEEvT4_PKT3_PKS2_PKT2_21rocsparse_index_base_S5_PS2_PS8_SB_S5_SC_SD_SB_SD_
    .private_segment_fixed_size: 0
    .sgpr_count:     25
    .sgpr_spill_count: 0
    .symbol:         _ZN9rocsparseL19csxsldu_fill_kernelILj1024EL20rocsparse_diag_type_1ELS1_1EfiiEEvT4_PKT3_PKS2_PKT2_21rocsparse_index_base_S5_PS2_PS8_SB_S5_SC_SD_SB_SD_.kd
    .uniform_work_group_size: 1
    .uses_dynamic_stack: false
    .vgpr_count:     21
    .vgpr_spill_count: 0
    .wavefront_size: 32
    .workgroup_processor_mode: 1
  - .args:
      - .offset:         0
        .size:           4
        .value_kind:     by_value
      - .address_space:  global
        .offset:         8
        .size:           8
        .value_kind:     global_buffer
      - .address_space:  global
        .offset:         16
        .size:           8
        .value_kind:     global_buffer
      - .address_space:  global
        .offset:         24
        .size:           8
        .value_kind:     global_buffer
      - .offset:         32
        .size:           4
        .value_kind:     by_value
      - .address_space:  global
        .offset:         40
        .size:           8
        .value_kind:     global_buffer
      - .address_space:  global
        .offset:         48
        .size:           8
        .value_kind:     global_buffer
      - .address_space:  global
        .offset:         56
        .size:           8
        .value_kind:     global_buffer
      - .offset:         64
        .size:           4
        .value_kind:     by_value
      - .address_space:  global
        .offset:         72
        .size:           8
        .value_kind:     global_buffer
      - .address_space:  global
        .offset:         80
        .size:           8
        .value_kind:     global_buffer
      - .address_space:  global
        .offset:         88
        .size:           8
        .value_kind:     global_buffer
      - .offset:         96
        .size:           4
        .value_kind:     by_value
      - .address_space:  global
        .offset:         104
        .size:           8
        .value_kind:     global_buffer
      - .offset:         112
        .size:           4
        .value_kind:     hidden_block_count_x
      - .offset:         116
        .size:           4
        .value_kind:     hidden_block_count_y
      - .offset:         120
        .size:           4
        .value_kind:     hidden_block_count_z
      - .offset:         124
        .size:           2
        .value_kind:     hidden_group_size_x
      - .offset:         126
        .size:           2
        .value_kind:     hidden_group_size_y
      - .offset:         128
        .size:           2
        .value_kind:     hidden_group_size_z
      - .offset:         130
        .size:           2
        .value_kind:     hidden_remainder_x
      - .offset:         132
        .size:           2
        .value_kind:     hidden_remainder_y
      - .offset:         134
        .size:           2
        .value_kind:     hidden_remainder_z
      - .offset:         152
        .size:           8
        .value_kind:     hidden_global_offset_x
      - .offset:         160
        .size:           8
        .value_kind:     hidden_global_offset_y
      - .offset:         168
        .size:           8
        .value_kind:     hidden_global_offset_z
      - .offset:         176
        .size:           2
        .value_kind:     hidden_grid_dims
    .group_segment_fixed_size: 0
    .kernarg_segment_align: 8
    .kernarg_segment_size: 368
    .language:       OpenCL C
    .language_version:
      - 2
      - 0
    .max_flat_workgroup_size: 1024
    .name:           _ZN9rocsparseL19csxsldu_fill_kernelILj1024EL20rocsparse_diag_type_0ELS1_1EfiiEEvT4_PKT3_PKS2_PKT2_21rocsparse_index_base_S5_PS2_PS8_SB_S5_SC_SD_SB_SD_
    .private_segment_fixed_size: 0
    .sgpr_count:     23
    .sgpr_spill_count: 0
    .symbol:         _ZN9rocsparseL19csxsldu_fill_kernelILj1024EL20rocsparse_diag_type_0ELS1_1EfiiEEvT4_PKT3_PKS2_PKT2_21rocsparse_index_base_S5_PS2_PS8_SB_S5_SC_SD_SB_SD_.kd
    .uniform_work_group_size: 1
    .uses_dynamic_stack: false
    .vgpr_count:     16
    .vgpr_spill_count: 0
    .wavefront_size: 32
    .workgroup_processor_mode: 1
  - .args:
      - .offset:         0
        .size:           4
        .value_kind:     by_value
      - .address_space:  global
        .offset:         8
        .size:           8
        .value_kind:     global_buffer
      - .address_space:  global
        .offset:         16
        .size:           8
        .value_kind:     global_buffer
      - .address_space:  global
        .offset:         24
        .size:           8
        .value_kind:     global_buffer
      - .offset:         32
        .size:           4
        .value_kind:     by_value
      - .address_space:  global
        .offset:         40
        .size:           8
        .value_kind:     global_buffer
      - .address_space:  global
        .offset:         48
        .size:           8
        .value_kind:     global_buffer
      - .address_space:  global
        .offset:         56
        .size:           8
        .value_kind:     global_buffer
      - .offset:         64
        .size:           4
        .value_kind:     by_value
      - .address_space:  global
        .offset:         72
        .size:           8
        .value_kind:     global_buffer
      - .address_space:  global
        .offset:         80
        .size:           8
        .value_kind:     global_buffer
      - .address_space:  global
        .offset:         88
        .size:           8
        .value_kind:     global_buffer
      - .offset:         96
        .size:           4
        .value_kind:     by_value
      - .address_space:  global
        .offset:         104
        .size:           8
        .value_kind:     global_buffer
      - .offset:         112
        .size:           4
        .value_kind:     hidden_block_count_x
      - .offset:         116
        .size:           4
        .value_kind:     hidden_block_count_y
      - .offset:         120
        .size:           4
        .value_kind:     hidden_block_count_z
      - .offset:         124
        .size:           2
        .value_kind:     hidden_group_size_x
      - .offset:         126
        .size:           2
        .value_kind:     hidden_group_size_y
      - .offset:         128
        .size:           2
        .value_kind:     hidden_group_size_z
      - .offset:         130
        .size:           2
        .value_kind:     hidden_remainder_x
      - .offset:         132
        .size:           2
        .value_kind:     hidden_remainder_y
      - .offset:         134
        .size:           2
        .value_kind:     hidden_remainder_z
      - .offset:         152
        .size:           8
        .value_kind:     hidden_global_offset_x
      - .offset:         160
        .size:           8
        .value_kind:     hidden_global_offset_y
      - .offset:         168
        .size:           8
        .value_kind:     hidden_global_offset_z
      - .offset:         176
        .size:           2
        .value_kind:     hidden_grid_dims
    .group_segment_fixed_size: 0
    .kernarg_segment_align: 8
    .kernarg_segment_size: 368
    .language:       OpenCL C
    .language_version:
      - 2
      - 0
    .max_flat_workgroup_size: 1024
    .name:           _ZN9rocsparseL19csxsldu_fill_kernelILj1024EL20rocsparse_diag_type_1ELS1_0EdiiEEvT4_PKT3_PKS2_PKT2_21rocsparse_index_base_S5_PS2_PS8_SB_S5_SC_SD_SB_SD_
    .private_segment_fixed_size: 0
    .sgpr_count:     23
    .sgpr_spill_count: 0
    .symbol:         _ZN9rocsparseL19csxsldu_fill_kernelILj1024EL20rocsparse_diag_type_1ELS1_0EdiiEEvT4_PKT3_PKS2_PKT2_21rocsparse_index_base_S5_PS2_PS8_SB_S5_SC_SD_SB_SD_.kd
    .uniform_work_group_size: 1
    .uses_dynamic_stack: false
    .vgpr_count:     17
    .vgpr_spill_count: 0
    .wavefront_size: 32
    .workgroup_processor_mode: 1
  - .args:
      - .offset:         0
        .size:           4
        .value_kind:     by_value
      - .address_space:  global
        .offset:         8
        .size:           8
        .value_kind:     global_buffer
      - .address_space:  global
        .offset:         16
        .size:           8
        .value_kind:     global_buffer
      - .address_space:  global
        .offset:         24
        .size:           8
        .value_kind:     global_buffer
      - .offset:         32
        .size:           4
        .value_kind:     by_value
      - .address_space:  global
        .offset:         40
        .size:           8
        .value_kind:     global_buffer
      - .address_space:  global
        .offset:         48
        .size:           8
        .value_kind:     global_buffer
      - .address_space:  global
        .offset:         56
        .size:           8
        .value_kind:     global_buffer
      - .offset:         64
        .size:           4
        .value_kind:     by_value
      - .address_space:  global
        .offset:         72
        .size:           8
        .value_kind:     global_buffer
      - .address_space:  global
        .offset:         80
        .size:           8
        .value_kind:     global_buffer
      - .address_space:  global
        .offset:         88
        .size:           8
        .value_kind:     global_buffer
      - .offset:         96
        .size:           4
        .value_kind:     by_value
      - .address_space:  global
        .offset:         104
        .size:           8
        .value_kind:     global_buffer
      - .offset:         112
        .size:           4
        .value_kind:     hidden_block_count_x
      - .offset:         116
        .size:           4
        .value_kind:     hidden_block_count_y
      - .offset:         120
        .size:           4
        .value_kind:     hidden_block_count_z
      - .offset:         124
        .size:           2
        .value_kind:     hidden_group_size_x
      - .offset:         126
        .size:           2
        .value_kind:     hidden_group_size_y
      - .offset:         128
        .size:           2
        .value_kind:     hidden_group_size_z
      - .offset:         130
        .size:           2
        .value_kind:     hidden_remainder_x
      - .offset:         132
        .size:           2
        .value_kind:     hidden_remainder_y
      - .offset:         134
        .size:           2
        .value_kind:     hidden_remainder_z
      - .offset:         152
        .size:           8
        .value_kind:     hidden_global_offset_x
      - .offset:         160
        .size:           8
        .value_kind:     hidden_global_offset_y
      - .offset:         168
        .size:           8
        .value_kind:     hidden_global_offset_z
      - .offset:         176
        .size:           2
        .value_kind:     hidden_grid_dims
    .group_segment_fixed_size: 0
    .kernarg_segment_align: 8
    .kernarg_segment_size: 368
    .language:       OpenCL C
    .language_version:
      - 2
      - 0
    .max_flat_workgroup_size: 1024
    .name:           _ZN9rocsparseL19csxsldu_fill_kernelILj1024EL20rocsparse_diag_type_1ELS1_1EdiiEEvT4_PKT3_PKS2_PKT2_21rocsparse_index_base_S5_PS2_PS8_SB_S5_SC_SD_SB_SD_
    .private_segment_fixed_size: 0
    .sgpr_count:     25
    .sgpr_spill_count: 0
    .symbol:         _ZN9rocsparseL19csxsldu_fill_kernelILj1024EL20rocsparse_diag_type_1ELS1_1EdiiEEvT4_PKT3_PKS2_PKT2_21rocsparse_index_base_S5_PS2_PS8_SB_S5_SC_SD_SB_SD_.kd
    .uniform_work_group_size: 1
    .uses_dynamic_stack: false
    .vgpr_count:     19
    .vgpr_spill_count: 0
    .wavefront_size: 32
    .workgroup_processor_mode: 1
  - .args:
      - .offset:         0
        .size:           4
        .value_kind:     by_value
      - .address_space:  global
        .offset:         8
        .size:           8
        .value_kind:     global_buffer
      - .address_space:  global
        .offset:         16
        .size:           8
        .value_kind:     global_buffer
      - .address_space:  global
        .offset:         24
        .size:           8
        .value_kind:     global_buffer
      - .offset:         32
        .size:           4
        .value_kind:     by_value
      - .address_space:  global
        .offset:         40
        .size:           8
        .value_kind:     global_buffer
      - .address_space:  global
        .offset:         48
        .size:           8
        .value_kind:     global_buffer
      - .address_space:  global
        .offset:         56
        .size:           8
        .value_kind:     global_buffer
      - .offset:         64
        .size:           4
        .value_kind:     by_value
      - .address_space:  global
        .offset:         72
        .size:           8
        .value_kind:     global_buffer
      - .address_space:  global
        .offset:         80
        .size:           8
        .value_kind:     global_buffer
      - .address_space:  global
        .offset:         88
        .size:           8
        .value_kind:     global_buffer
      - .offset:         96
        .size:           4
        .value_kind:     by_value
      - .address_space:  global
        .offset:         104
        .size:           8
        .value_kind:     global_buffer
      - .offset:         112
        .size:           4
        .value_kind:     hidden_block_count_x
      - .offset:         116
        .size:           4
        .value_kind:     hidden_block_count_y
      - .offset:         120
        .size:           4
        .value_kind:     hidden_block_count_z
      - .offset:         124
        .size:           2
        .value_kind:     hidden_group_size_x
      - .offset:         126
        .size:           2
        .value_kind:     hidden_group_size_y
      - .offset:         128
        .size:           2
        .value_kind:     hidden_group_size_z
      - .offset:         130
        .size:           2
        .value_kind:     hidden_remainder_x
      - .offset:         132
        .size:           2
        .value_kind:     hidden_remainder_y
      - .offset:         134
        .size:           2
        .value_kind:     hidden_remainder_z
      - .offset:         152
        .size:           8
        .value_kind:     hidden_global_offset_x
      - .offset:         160
        .size:           8
        .value_kind:     hidden_global_offset_y
      - .offset:         168
        .size:           8
        .value_kind:     hidden_global_offset_z
      - .offset:         176
        .size:           2
        .value_kind:     hidden_grid_dims
    .group_segment_fixed_size: 0
    .kernarg_segment_align: 8
    .kernarg_segment_size: 368
    .language:       OpenCL C
    .language_version:
      - 2
      - 0
    .max_flat_workgroup_size: 1024
    .name:           _ZN9rocsparseL19csxsldu_fill_kernelILj1024EL20rocsparse_diag_type_0ELS1_1EdiiEEvT4_PKT3_PKS2_PKT2_21rocsparse_index_base_S5_PS2_PS8_SB_S5_SC_SD_SB_SD_
    .private_segment_fixed_size: 0
    .sgpr_count:     23
    .sgpr_spill_count: 0
    .symbol:         _ZN9rocsparseL19csxsldu_fill_kernelILj1024EL20rocsparse_diag_type_0ELS1_1EdiiEEvT4_PKT3_PKS2_PKT2_21rocsparse_index_base_S5_PS2_PS8_SB_S5_SC_SD_SB_SD_.kd
    .uniform_work_group_size: 1
    .uses_dynamic_stack: false
    .vgpr_count:     17
    .vgpr_spill_count: 0
    .wavefront_size: 32
    .workgroup_processor_mode: 1
  - .args:
      - .offset:         0
        .size:           4
        .value_kind:     by_value
      - .address_space:  global
        .offset:         8
        .size:           8
        .value_kind:     global_buffer
      - .address_space:  global
        .offset:         16
        .size:           8
        .value_kind:     global_buffer
      - .address_space:  global
        .offset:         24
        .size:           8
        .value_kind:     global_buffer
      - .offset:         32
        .size:           4
        .value_kind:     by_value
      - .address_space:  global
        .offset:         40
        .size:           8
        .value_kind:     global_buffer
      - .address_space:  global
        .offset:         48
        .size:           8
        .value_kind:     global_buffer
      - .address_space:  global
        .offset:         56
        .size:           8
        .value_kind:     global_buffer
      - .offset:         64
        .size:           4
        .value_kind:     by_value
      - .address_space:  global
        .offset:         72
        .size:           8
        .value_kind:     global_buffer
      - .address_space:  global
        .offset:         80
        .size:           8
        .value_kind:     global_buffer
      - .address_space:  global
        .offset:         88
        .size:           8
        .value_kind:     global_buffer
      - .offset:         96
        .size:           4
        .value_kind:     by_value
      - .address_space:  global
        .offset:         104
        .size:           8
        .value_kind:     global_buffer
      - .offset:         112
        .size:           4
        .value_kind:     hidden_block_count_x
      - .offset:         116
        .size:           4
        .value_kind:     hidden_block_count_y
      - .offset:         120
        .size:           4
        .value_kind:     hidden_block_count_z
      - .offset:         124
        .size:           2
        .value_kind:     hidden_group_size_x
      - .offset:         126
        .size:           2
        .value_kind:     hidden_group_size_y
      - .offset:         128
        .size:           2
        .value_kind:     hidden_group_size_z
      - .offset:         130
        .size:           2
        .value_kind:     hidden_remainder_x
      - .offset:         132
        .size:           2
        .value_kind:     hidden_remainder_y
      - .offset:         134
        .size:           2
        .value_kind:     hidden_remainder_z
      - .offset:         152
        .size:           8
        .value_kind:     hidden_global_offset_x
      - .offset:         160
        .size:           8
        .value_kind:     hidden_global_offset_y
      - .offset:         168
        .size:           8
        .value_kind:     hidden_global_offset_z
      - .offset:         176
        .size:           2
        .value_kind:     hidden_grid_dims
    .group_segment_fixed_size: 0
    .kernarg_segment_align: 8
    .kernarg_segment_size: 368
    .language:       OpenCL C
    .language_version:
      - 2
      - 0
    .max_flat_workgroup_size: 1024
    .name:           _ZN9rocsparseL19csxsldu_fill_kernelILj1024EL20rocsparse_diag_type_1ELS1_0E21rocsparse_complex_numIfEiiEEvT4_PKT3_PKS4_PKT2_21rocsparse_index_base_S7_PS4_PSA_SD_S7_SE_SF_SD_SF_
    .private_segment_fixed_size: 0
    .sgpr_count:     23
    .sgpr_spill_count: 0
    .symbol:         _ZN9rocsparseL19csxsldu_fill_kernelILj1024EL20rocsparse_diag_type_1ELS1_0E21rocsparse_complex_numIfEiiEEvT4_PKT3_PKS4_PKT2_21rocsparse_index_base_S7_PS4_PSA_SD_S7_SE_SF_SD_SF_.kd
    .uniform_work_group_size: 1
    .uses_dynamic_stack: false
    .vgpr_count:     15
    .vgpr_spill_count: 0
    .wavefront_size: 32
    .workgroup_processor_mode: 1
  - .args:
      - .offset:         0
        .size:           4
        .value_kind:     by_value
      - .address_space:  global
        .offset:         8
        .size:           8
        .value_kind:     global_buffer
      - .address_space:  global
        .offset:         16
        .size:           8
        .value_kind:     global_buffer
      - .address_space:  global
        .offset:         24
        .size:           8
        .value_kind:     global_buffer
      - .offset:         32
        .size:           4
        .value_kind:     by_value
      - .address_space:  global
        .offset:         40
        .size:           8
        .value_kind:     global_buffer
      - .address_space:  global
        .offset:         48
        .size:           8
        .value_kind:     global_buffer
      - .address_space:  global
        .offset:         56
        .size:           8
        .value_kind:     global_buffer
      - .offset:         64
        .size:           4
        .value_kind:     by_value
      - .address_space:  global
        .offset:         72
        .size:           8
        .value_kind:     global_buffer
      - .address_space:  global
        .offset:         80
        .size:           8
        .value_kind:     global_buffer
      - .address_space:  global
        .offset:         88
        .size:           8
        .value_kind:     global_buffer
      - .offset:         96
        .size:           4
        .value_kind:     by_value
      - .address_space:  global
        .offset:         104
        .size:           8
        .value_kind:     global_buffer
      - .offset:         112
        .size:           4
        .value_kind:     hidden_block_count_x
      - .offset:         116
        .size:           4
        .value_kind:     hidden_block_count_y
      - .offset:         120
        .size:           4
        .value_kind:     hidden_block_count_z
      - .offset:         124
        .size:           2
        .value_kind:     hidden_group_size_x
      - .offset:         126
        .size:           2
        .value_kind:     hidden_group_size_y
      - .offset:         128
        .size:           2
        .value_kind:     hidden_group_size_z
      - .offset:         130
        .size:           2
        .value_kind:     hidden_remainder_x
      - .offset:         132
        .size:           2
        .value_kind:     hidden_remainder_y
      - .offset:         134
        .size:           2
        .value_kind:     hidden_remainder_z
      - .offset:         152
        .size:           8
        .value_kind:     hidden_global_offset_x
      - .offset:         160
        .size:           8
        .value_kind:     hidden_global_offset_y
      - .offset:         168
        .size:           8
        .value_kind:     hidden_global_offset_z
      - .offset:         176
        .size:           2
        .value_kind:     hidden_grid_dims
    .group_segment_fixed_size: 0
    .kernarg_segment_align: 8
    .kernarg_segment_size: 368
    .language:       OpenCL C
    .language_version:
      - 2
      - 0
    .max_flat_workgroup_size: 1024
    .name:           _ZN9rocsparseL19csxsldu_fill_kernelILj1024EL20rocsparse_diag_type_1ELS1_1E21rocsparse_complex_numIfEiiEEvT4_PKT3_PKS4_PKT2_21rocsparse_index_base_S7_PS4_PSA_SD_S7_SE_SF_SD_SF_
    .private_segment_fixed_size: 0
    .sgpr_count:     25
    .sgpr_spill_count: 0
    .symbol:         _ZN9rocsparseL19csxsldu_fill_kernelILj1024EL20rocsparse_diag_type_1ELS1_1E21rocsparse_complex_numIfEiiEEvT4_PKT3_PKS4_PKT2_21rocsparse_index_base_S7_PS4_PSA_SD_S7_SE_SF_SD_SF_.kd
    .uniform_work_group_size: 1
    .uses_dynamic_stack: false
    .vgpr_count:     19
    .vgpr_spill_count: 0
    .wavefront_size: 32
    .workgroup_processor_mode: 1
  - .args:
      - .offset:         0
        .size:           4
        .value_kind:     by_value
      - .address_space:  global
        .offset:         8
        .size:           8
        .value_kind:     global_buffer
      - .address_space:  global
        .offset:         16
        .size:           8
        .value_kind:     global_buffer
      - .address_space:  global
        .offset:         24
        .size:           8
        .value_kind:     global_buffer
      - .offset:         32
        .size:           4
        .value_kind:     by_value
      - .address_space:  global
        .offset:         40
        .size:           8
        .value_kind:     global_buffer
      - .address_space:  global
        .offset:         48
        .size:           8
        .value_kind:     global_buffer
      - .address_space:  global
        .offset:         56
        .size:           8
        .value_kind:     global_buffer
      - .offset:         64
        .size:           4
        .value_kind:     by_value
      - .address_space:  global
        .offset:         72
        .size:           8
        .value_kind:     global_buffer
      - .address_space:  global
        .offset:         80
        .size:           8
        .value_kind:     global_buffer
      - .address_space:  global
        .offset:         88
        .size:           8
        .value_kind:     global_buffer
      - .offset:         96
        .size:           4
        .value_kind:     by_value
      - .address_space:  global
        .offset:         104
        .size:           8
        .value_kind:     global_buffer
      - .offset:         112
        .size:           4
        .value_kind:     hidden_block_count_x
      - .offset:         116
        .size:           4
        .value_kind:     hidden_block_count_y
      - .offset:         120
        .size:           4
        .value_kind:     hidden_block_count_z
      - .offset:         124
        .size:           2
        .value_kind:     hidden_group_size_x
      - .offset:         126
        .size:           2
        .value_kind:     hidden_group_size_y
      - .offset:         128
        .size:           2
        .value_kind:     hidden_group_size_z
      - .offset:         130
        .size:           2
        .value_kind:     hidden_remainder_x
      - .offset:         132
        .size:           2
        .value_kind:     hidden_remainder_y
      - .offset:         134
        .size:           2
        .value_kind:     hidden_remainder_z
      - .offset:         152
        .size:           8
        .value_kind:     hidden_global_offset_x
      - .offset:         160
        .size:           8
        .value_kind:     hidden_global_offset_y
      - .offset:         168
        .size:           8
        .value_kind:     hidden_global_offset_z
      - .offset:         176
        .size:           2
        .value_kind:     hidden_grid_dims
    .group_segment_fixed_size: 0
    .kernarg_segment_align: 8
    .kernarg_segment_size: 368
    .language:       OpenCL C
    .language_version:
      - 2
      - 0
    .max_flat_workgroup_size: 1024
    .name:           _ZN9rocsparseL19csxsldu_fill_kernelILj1024EL20rocsparse_diag_type_0ELS1_1E21rocsparse_complex_numIfEiiEEvT4_PKT3_PKS4_PKT2_21rocsparse_index_base_S7_PS4_PSA_SD_S7_SE_SF_SD_SF_
    .private_segment_fixed_size: 0
    .sgpr_count:     23
    .sgpr_spill_count: 0
    .symbol:         _ZN9rocsparseL19csxsldu_fill_kernelILj1024EL20rocsparse_diag_type_0ELS1_1E21rocsparse_complex_numIfEiiEEvT4_PKT3_PKS4_PKT2_21rocsparse_index_base_S7_PS4_PSA_SD_S7_SE_SF_SD_SF_.kd
    .uniform_work_group_size: 1
    .uses_dynamic_stack: false
    .vgpr_count:     15
    .vgpr_spill_count: 0
    .wavefront_size: 32
    .workgroup_processor_mode: 1
  - .args:
      - .offset:         0
        .size:           4
        .value_kind:     by_value
      - .address_space:  global
        .offset:         8
        .size:           8
        .value_kind:     global_buffer
      - .address_space:  global
        .offset:         16
        .size:           8
        .value_kind:     global_buffer
      - .address_space:  global
        .offset:         24
        .size:           8
        .value_kind:     global_buffer
      - .offset:         32
        .size:           4
        .value_kind:     by_value
      - .address_space:  global
        .offset:         40
        .size:           8
        .value_kind:     global_buffer
      - .address_space:  global
        .offset:         48
        .size:           8
        .value_kind:     global_buffer
      - .address_space:  global
        .offset:         56
        .size:           8
        .value_kind:     global_buffer
      - .offset:         64
        .size:           4
        .value_kind:     by_value
      - .address_space:  global
        .offset:         72
        .size:           8
        .value_kind:     global_buffer
      - .address_space:  global
        .offset:         80
        .size:           8
        .value_kind:     global_buffer
      - .address_space:  global
        .offset:         88
        .size:           8
        .value_kind:     global_buffer
      - .offset:         96
        .size:           4
        .value_kind:     by_value
      - .address_space:  global
        .offset:         104
        .size:           8
        .value_kind:     global_buffer
      - .offset:         112
        .size:           4
        .value_kind:     hidden_block_count_x
      - .offset:         116
        .size:           4
        .value_kind:     hidden_block_count_y
      - .offset:         120
        .size:           4
        .value_kind:     hidden_block_count_z
      - .offset:         124
        .size:           2
        .value_kind:     hidden_group_size_x
      - .offset:         126
        .size:           2
        .value_kind:     hidden_group_size_y
      - .offset:         128
        .size:           2
        .value_kind:     hidden_group_size_z
      - .offset:         130
        .size:           2
        .value_kind:     hidden_remainder_x
      - .offset:         132
        .size:           2
        .value_kind:     hidden_remainder_y
      - .offset:         134
        .size:           2
        .value_kind:     hidden_remainder_z
      - .offset:         152
        .size:           8
        .value_kind:     hidden_global_offset_x
      - .offset:         160
        .size:           8
        .value_kind:     hidden_global_offset_y
      - .offset:         168
        .size:           8
        .value_kind:     hidden_global_offset_z
      - .offset:         176
        .size:           2
        .value_kind:     hidden_grid_dims
    .group_segment_fixed_size: 0
    .kernarg_segment_align: 8
    .kernarg_segment_size: 368
    .language:       OpenCL C
    .language_version:
      - 2
      - 0
    .max_flat_workgroup_size: 1024
    .name:           _ZN9rocsparseL19csxsldu_fill_kernelILj1024EL20rocsparse_diag_type_1ELS1_0E21rocsparse_complex_numIdEiiEEvT4_PKT3_PKS4_PKT2_21rocsparse_index_base_S7_PS4_PSA_SD_S7_SE_SF_SD_SF_
    .private_segment_fixed_size: 0
    .sgpr_count:     23
    .sgpr_spill_count: 0
    .symbol:         _ZN9rocsparseL19csxsldu_fill_kernelILj1024EL20rocsparse_diag_type_1ELS1_0E21rocsparse_complex_numIdEiiEEvT4_PKT3_PKS4_PKT2_21rocsparse_index_base_S7_PS4_PSA_SD_S7_SE_SF_SD_SF_.kd
    .uniform_work_group_size: 1
    .uses_dynamic_stack: false
    .vgpr_count:     17
    .vgpr_spill_count: 0
    .wavefront_size: 32
    .workgroup_processor_mode: 1
  - .args:
      - .offset:         0
        .size:           4
        .value_kind:     by_value
      - .address_space:  global
        .offset:         8
        .size:           8
        .value_kind:     global_buffer
      - .address_space:  global
        .offset:         16
        .size:           8
        .value_kind:     global_buffer
      - .address_space:  global
        .offset:         24
        .size:           8
        .value_kind:     global_buffer
      - .offset:         32
        .size:           4
        .value_kind:     by_value
      - .address_space:  global
        .offset:         40
        .size:           8
        .value_kind:     global_buffer
      - .address_space:  global
        .offset:         48
        .size:           8
        .value_kind:     global_buffer
      - .address_space:  global
        .offset:         56
        .size:           8
        .value_kind:     global_buffer
      - .offset:         64
        .size:           4
        .value_kind:     by_value
      - .address_space:  global
        .offset:         72
        .size:           8
        .value_kind:     global_buffer
      - .address_space:  global
        .offset:         80
        .size:           8
        .value_kind:     global_buffer
      - .address_space:  global
        .offset:         88
        .size:           8
        .value_kind:     global_buffer
      - .offset:         96
        .size:           4
        .value_kind:     by_value
      - .address_space:  global
        .offset:         104
        .size:           8
        .value_kind:     global_buffer
      - .offset:         112
        .size:           4
        .value_kind:     hidden_block_count_x
      - .offset:         116
        .size:           4
        .value_kind:     hidden_block_count_y
      - .offset:         120
        .size:           4
        .value_kind:     hidden_block_count_z
      - .offset:         124
        .size:           2
        .value_kind:     hidden_group_size_x
      - .offset:         126
        .size:           2
        .value_kind:     hidden_group_size_y
      - .offset:         128
        .size:           2
        .value_kind:     hidden_group_size_z
      - .offset:         130
        .size:           2
        .value_kind:     hidden_remainder_x
      - .offset:         132
        .size:           2
        .value_kind:     hidden_remainder_y
      - .offset:         134
        .size:           2
        .value_kind:     hidden_remainder_z
      - .offset:         152
        .size:           8
        .value_kind:     hidden_global_offset_x
      - .offset:         160
        .size:           8
        .value_kind:     hidden_global_offset_y
      - .offset:         168
        .size:           8
        .value_kind:     hidden_global_offset_z
      - .offset:         176
        .size:           2
        .value_kind:     hidden_grid_dims
    .group_segment_fixed_size: 0
    .kernarg_segment_align: 8
    .kernarg_segment_size: 368
    .language:       OpenCL C
    .language_version:
      - 2
      - 0
    .max_flat_workgroup_size: 1024
    .name:           _ZN9rocsparseL19csxsldu_fill_kernelILj1024EL20rocsparse_diag_type_1ELS1_1E21rocsparse_complex_numIdEiiEEvT4_PKT3_PKS4_PKT2_21rocsparse_index_base_S7_PS4_PSA_SD_S7_SE_SF_SD_SF_
    .private_segment_fixed_size: 0
    .sgpr_count:     25
    .sgpr_spill_count: 0
    .symbol:         _ZN9rocsparseL19csxsldu_fill_kernelILj1024EL20rocsparse_diag_type_1ELS1_1E21rocsparse_complex_numIdEiiEEvT4_PKT3_PKS4_PKT2_21rocsparse_index_base_S7_PS4_PSA_SD_S7_SE_SF_SD_SF_.kd
    .uniform_work_group_size: 1
    .uses_dynamic_stack: false
    .vgpr_count:     21
    .vgpr_spill_count: 0
    .wavefront_size: 32
    .workgroup_processor_mode: 1
  - .args:
      - .offset:         0
        .size:           4
        .value_kind:     by_value
      - .address_space:  global
        .offset:         8
        .size:           8
        .value_kind:     global_buffer
      - .address_space:  global
        .offset:         16
        .size:           8
        .value_kind:     global_buffer
      - .address_space:  global
        .offset:         24
        .size:           8
        .value_kind:     global_buffer
      - .offset:         32
        .size:           4
        .value_kind:     by_value
      - .address_space:  global
        .offset:         40
        .size:           8
        .value_kind:     global_buffer
      - .address_space:  global
        .offset:         48
        .size:           8
        .value_kind:     global_buffer
      - .address_space:  global
        .offset:         56
        .size:           8
        .value_kind:     global_buffer
      - .offset:         64
        .size:           4
        .value_kind:     by_value
      - .address_space:  global
        .offset:         72
        .size:           8
        .value_kind:     global_buffer
      - .address_space:  global
        .offset:         80
        .size:           8
        .value_kind:     global_buffer
      - .address_space:  global
        .offset:         88
        .size:           8
        .value_kind:     global_buffer
      - .offset:         96
        .size:           4
        .value_kind:     by_value
      - .address_space:  global
        .offset:         104
        .size:           8
        .value_kind:     global_buffer
      - .offset:         112
        .size:           4
        .value_kind:     hidden_block_count_x
      - .offset:         116
        .size:           4
        .value_kind:     hidden_block_count_y
      - .offset:         120
        .size:           4
        .value_kind:     hidden_block_count_z
      - .offset:         124
        .size:           2
        .value_kind:     hidden_group_size_x
      - .offset:         126
        .size:           2
        .value_kind:     hidden_group_size_y
      - .offset:         128
        .size:           2
        .value_kind:     hidden_group_size_z
      - .offset:         130
        .size:           2
        .value_kind:     hidden_remainder_x
      - .offset:         132
        .size:           2
        .value_kind:     hidden_remainder_y
      - .offset:         134
        .size:           2
        .value_kind:     hidden_remainder_z
      - .offset:         152
        .size:           8
        .value_kind:     hidden_global_offset_x
      - .offset:         160
        .size:           8
        .value_kind:     hidden_global_offset_y
      - .offset:         168
        .size:           8
        .value_kind:     hidden_global_offset_z
      - .offset:         176
        .size:           2
        .value_kind:     hidden_grid_dims
    .group_segment_fixed_size: 0
    .kernarg_segment_align: 8
    .kernarg_segment_size: 368
    .language:       OpenCL C
    .language_version:
      - 2
      - 0
    .max_flat_workgroup_size: 1024
    .name:           _ZN9rocsparseL19csxsldu_fill_kernelILj1024EL20rocsparse_diag_type_0ELS1_1E21rocsparse_complex_numIdEiiEEvT4_PKT3_PKS4_PKT2_21rocsparse_index_base_S7_PS4_PSA_SD_S7_SE_SF_SD_SF_
    .private_segment_fixed_size: 0
    .sgpr_count:     23
    .sgpr_spill_count: 0
    .symbol:         _ZN9rocsparseL19csxsldu_fill_kernelILj1024EL20rocsparse_diag_type_0ELS1_1E21rocsparse_complex_numIdEiiEEvT4_PKT3_PKS4_PKT2_21rocsparse_index_base_S7_PS4_PSA_SD_S7_SE_SF_SD_SF_.kd
    .uniform_work_group_size: 1
    .uses_dynamic_stack: false
    .vgpr_count:     17
    .vgpr_spill_count: 0
    .wavefront_size: 32
    .workgroup_processor_mode: 1
amdhsa.target:   amdgcn-amd-amdhsa--gfx1030
amdhsa.version:
  - 1
  - 2
...

	.end_amdgpu_metadata
